;; amdgpu-corpus repo=ROCm/rocFFT kind=compiled arch=gfx906 opt=O3
	.text
	.amdgcn_target "amdgcn-amd-amdhsa--gfx906"
	.amdhsa_code_object_version 6
	.protected	bluestein_single_fwd_len1540_dim1_dp_op_CI_CI ; -- Begin function bluestein_single_fwd_len1540_dim1_dp_op_CI_CI
	.globl	bluestein_single_fwd_len1540_dim1_dp_op_CI_CI
	.p2align	8
	.type	bluestein_single_fwd_len1540_dim1_dp_op_CI_CI,@function
bluestein_single_fwd_len1540_dim1_dp_op_CI_CI: ; @bluestein_single_fwd_len1540_dim1_dp_op_CI_CI
; %bb.0:
	s_mov_b64 s[46:47], s[2:3]
	s_mov_b64 s[44:45], s[0:1]
	s_load_dwordx4 s[0:3], s[4:5], 0x28
	v_mul_u32_u24_e32 v1, 0x1aa, v0
	v_add_u32_sdwa v232, s6, v1 dst_sel:DWORD dst_unused:UNUSED_PAD src0_sel:DWORD src1_sel:WORD_1
	v_mov_b32_e32 v233, 0
	s_add_u32 s44, s44, s7
	s_waitcnt lgkmcnt(0)
	v_cmp_gt_u64_e32 vcc, s[0:1], v[232:233]
	s_addc_u32 s45, s45, 0
	s_and_saveexec_b64 s[0:1], vcc
	s_cbranch_execz .LBB0_23
; %bb.1:
	s_load_dwordx2 s[14:15], s[4:5], 0x0
	s_load_dwordx2 s[12:13], s[4:5], 0x38
	s_movk_i32 s0, 0x9a
	v_mul_lo_u16_sdwa v1, v1, s0 dst_sel:DWORD dst_unused:UNUSED_PAD src0_sel:WORD_1 src1_sel:DWORD
	v_sub_u16_e32 v226, v0, v1
	s_movk_i32 s0, 0x8c
	v_cmp_gt_u16_e64 s[0:1], s0, v226
	v_lshlrev_b32_e32 v225, 4, v226
	s_and_saveexec_b64 s[6:7], s[0:1]
	s_cbranch_execz .LBB0_3
; %bb.2:
	s_load_dwordx2 s[8:9], s[4:5], 0x18
	s_waitcnt lgkmcnt(0)
	s_load_dwordx4 s[8:11], s[8:9], 0x0
	s_waitcnt lgkmcnt(0)
	v_mad_u64_u32 v[0:1], s[16:17], s10, v232, 0
	v_mad_u64_u32 v[2:3], s[16:17], s8, v226, 0
	;; [unrolled: 1-line block ×4, first 2 shown]
	v_mov_b32_e32 v1, v4
	v_lshlrev_b64 v[0:1], 4, v[0:1]
	v_mov_b32_e32 v3, v5
	v_mov_b32_e32 v6, s3
	v_lshlrev_b64 v[2:3], 4, v[2:3]
	v_add_co_u32_e32 v0, vcc, s2, v0
	v_addc_co_u32_e32 v1, vcc, v6, v1, vcc
	v_add_co_u32_e32 v16, vcc, v0, v2
	v_addc_co_u32_e32 v17, vcc, v1, v3, vcc
	v_mov_b32_e32 v0, s15
	v_add_co_u32_e32 v84, vcc, s14, v225
	s_mul_i32 s2, s9, 0x8c0
	s_mul_hi_u32 s3, s8, 0x8c0
	v_addc_co_u32_e32 v85, vcc, 0, v0, vcc
	s_add_i32 s2, s3, s2
	s_mul_i32 s3, s8, 0x8c0
	v_mov_b32_e32 v4, s2
	v_add_co_u32_e32 v18, vcc, s3, v16
	v_addc_co_u32_e32 v19, vcc, v17, v4, vcc
	global_load_dwordx4 v[0:3], v225, s[14:15]
	global_load_dwordx4 v[4:7], v[16:17], off
	global_load_dwordx4 v[8:11], v[18:19], off
	global_load_dwordx4 v[12:15], v225, s[14:15] offset:2240
	v_mov_b32_e32 v16, s2
	v_add_co_u32_e32 v20, vcc, s3, v18
	v_addc_co_u32_e32 v21, vcc, v19, v16, vcc
	s_movk_i32 s8, 0x1000
	v_add_co_u32_e32 v28, vcc, s8, v84
	v_addc_co_u32_e32 v29, vcc, 0, v85, vcc
	v_mov_b32_e32 v22, s2
	v_add_co_u32_e32 v36, vcc, s3, v20
	global_load_dwordx4 v[16:19], v[20:21], off
	v_addc_co_u32_e32 v37, vcc, v21, v22, vcc
	global_load_dwordx4 v[20:23], v[28:29], off offset:384
	global_load_dwordx4 v[24:27], v[28:29], off offset:2624
	v_mov_b32_e32 v28, s2
	v_add_co_u32_e32 v38, vcc, s3, v36
	v_addc_co_u32_e32 v39, vcc, v37, v28, vcc
	s_movk_i32 s8, 0x2000
	v_add_co_u32_e32 v48, vcc, s8, v84
	v_addc_co_u32_e32 v49, vcc, 0, v85, vcc
	global_load_dwordx4 v[28:31], v[36:37], off
	global_load_dwordx4 v[32:35], v[38:39], off
	v_mov_b32_e32 v36, s2
	v_add_co_u32_e32 v50, vcc, s3, v38
	v_addc_co_u32_e32 v51, vcc, v39, v36, vcc
	global_load_dwordx4 v[36:39], v[50:51], off
	global_load_dwordx4 v[40:43], v[48:49], off offset:768
	global_load_dwordx4 v[44:47], v[48:49], off offset:3008
	v_mov_b32_e32 v48, s2
	v_add_co_u32_e32 v52, vcc, s3, v50
	v_addc_co_u32_e32 v53, vcc, v51, v48, vcc
	s_movk_i32 s8, 0x3000
	v_add_co_u32_e32 v64, vcc, s8, v84
	v_addc_co_u32_e32 v65, vcc, 0, v85, vcc
	v_mov_b32_e32 v54, s2
	v_add_co_u32_e32 v66, vcc, s3, v52
	v_addc_co_u32_e32 v67, vcc, v53, v54, vcc
	global_load_dwordx4 v[48:51], v[52:53], off
	s_nop 0
	global_load_dwordx4 v[52:55], v[66:67], off
	global_load_dwordx4 v[56:59], v[64:65], off offset:1152
	global_load_dwordx4 v[60:63], v[64:65], off offset:3392
	v_mov_b32_e32 v64, s2
	v_add_co_u32_e32 v68, vcc, s3, v66
	v_addc_co_u32_e32 v69, vcc, v67, v64, vcc
	s_movk_i32 s8, 0x4000
	v_add_co_u32_e32 v80, vcc, s8, v84
	v_addc_co_u32_e32 v81, vcc, 0, v85, vcc
	v_mov_b32_e32 v70, s2
	v_add_co_u32_e32 v82, vcc, s3, v68
	v_addc_co_u32_e32 v83, vcc, v69, v70, vcc
	global_load_dwordx4 v[64:67], v[68:69], off
	s_nop 0
	global_load_dwordx4 v[68:71], v[82:83], off
	global_load_dwordx4 v[72:75], v[80:81], off offset:1536
	global_load_dwordx4 v[76:79], v[80:81], off offset:3776
	v_mov_b32_e32 v81, s2
	v_add_co_u32_e32 v80, vcc, s3, v82
	v_addc_co_u32_e32 v81, vcc, v83, v81, vcc
	s_movk_i32 s2, 0x5000
	v_add_co_u32_e32 v84, vcc, s2, v84
	v_addc_co_u32_e32 v85, vcc, 0, v85, vcc
	global_load_dwordx4 v[80:83], v[80:81], off
	s_waitcnt vmcnt(19)
	v_mul_f64 v[88:89], v[6:7], v[2:3]
	global_load_dwordx4 v[84:87], v[84:85], off offset:1920
	v_mul_f64 v[90:91], v[4:5], v[2:3]
	s_waitcnt vmcnt(18)
	v_mul_f64 v[92:93], v[10:11], v[14:15]
	v_mul_f64 v[14:15], v[8:9], v[14:15]
	v_fma_f64 v[2:3], v[4:5], v[0:1], v[88:89]
	v_fma_f64 v[4:5], v[6:7], v[0:1], -v[90:91]
	v_fma_f64 v[6:7], v[8:9], v[12:13], v[92:93]
	v_fma_f64 v[8:9], v[10:11], v[12:13], -v[14:15]
	s_waitcnt vmcnt(16)
	v_mul_f64 v[94:95], v[18:19], v[22:23]
	v_mul_f64 v[22:23], v[16:17], v[22:23]
	v_fma_f64 v[10:11], v[16:17], v[20:21], v[94:95]
	v_fma_f64 v[12:13], v[18:19], v[20:21], -v[22:23]
	ds_write_b128 v225, v[2:5]
	ds_write_b128 v225, v[6:9] offset:2240
	ds_write_b128 v225, v[10:13] offset:4480
	s_waitcnt vmcnt(14)
	v_mul_f64 v[0:1], v[30:31], v[26:27]
	v_mul_f64 v[2:3], v[28:29], v[26:27]
	s_waitcnt vmcnt(11)
	v_mul_f64 v[4:5], v[34:35], v[42:43]
	v_mul_f64 v[6:7], v[32:33], v[42:43]
	;; [unrolled: 3-line block ×3, first 2 shown]
	v_fma_f64 v[0:1], v[28:29], v[24:25], v[0:1]
	v_fma_f64 v[2:3], v[30:31], v[24:25], -v[2:3]
	v_fma_f64 v[4:5], v[32:33], v[40:41], v[4:5]
	v_fma_f64 v[6:7], v[34:35], v[40:41], -v[6:7]
	v_fma_f64 v[8:9], v[36:37], v[44:45], v[8:9]
	v_fma_f64 v[10:11], v[38:39], v[44:45], -v[10:11]
	s_waitcnt vmcnt(7)
	v_mul_f64 v[12:13], v[50:51], v[58:59]
	v_mul_f64 v[14:15], v[48:49], v[58:59]
	s_waitcnt vmcnt(6)
	v_mul_f64 v[16:17], v[54:55], v[62:63]
	v_mul_f64 v[18:19], v[52:53], v[62:63]
	v_fma_f64 v[12:13], v[48:49], v[56:57], v[12:13]
	v_fma_f64 v[14:15], v[50:51], v[56:57], -v[14:15]
	v_fma_f64 v[16:17], v[52:53], v[60:61], v[16:17]
	v_fma_f64 v[18:19], v[54:55], v[60:61], -v[18:19]
	s_waitcnt vmcnt(3)
	v_mul_f64 v[20:21], v[66:67], v[74:75]
	v_mul_f64 v[22:23], v[64:65], v[74:75]
	s_waitcnt vmcnt(2)
	v_mul_f64 v[24:25], v[70:71], v[78:79]
	v_mul_f64 v[26:27], v[68:69], v[78:79]
	v_fma_f64 v[20:21], v[64:65], v[72:73], v[20:21]
	v_fma_f64 v[22:23], v[66:67], v[72:73], -v[22:23]
	v_fma_f64 v[24:25], v[68:69], v[76:77], v[24:25]
	v_fma_f64 v[26:27], v[70:71], v[76:77], -v[26:27]
	s_waitcnt vmcnt(0)
	v_mul_f64 v[28:29], v[82:83], v[86:87]
	v_mul_f64 v[30:31], v[80:81], v[86:87]
	v_fma_f64 v[28:29], v[80:81], v[84:85], v[28:29]
	v_fma_f64 v[30:31], v[82:83], v[84:85], -v[30:31]
	ds_write_b128 v225, v[0:3] offset:6720
	ds_write_b128 v225, v[4:7] offset:8960
	;; [unrolled: 1-line block ×8, first 2 shown]
.LBB0_3:
	s_or_b64 exec, exec, s[6:7]
	s_load_dwordx2 s[2:3], s[4:5], 0x20
	s_load_dwordx2 s[8:9], s[4:5], 0x8
	s_waitcnt lgkmcnt(0)
	s_barrier
	s_waitcnt lgkmcnt(0)
                                        ; implicit-def: $vgpr0_vgpr1
                                        ; implicit-def: $vgpr36_vgpr37
                                        ; implicit-def: $vgpr40_vgpr41
                                        ; implicit-def: $vgpr24_vgpr25
                                        ; implicit-def: $vgpr28_vgpr29
                                        ; implicit-def: $vgpr32_vgpr33
                                        ; implicit-def: $vgpr20_vgpr21
                                        ; implicit-def: $vgpr4_vgpr5
                                        ; implicit-def: $vgpr8_vgpr9
                                        ; implicit-def: $vgpr12_vgpr13
                                        ; implicit-def: $vgpr16_vgpr17
	s_and_saveexec_b64 s[4:5], s[0:1]
	s_cbranch_execz .LBB0_5
; %bb.4:
	ds_read_b128 v[0:3], v225
	ds_read_b128 v[36:39], v225 offset:2240
	ds_read_b128 v[40:43], v225 offset:4480
	;; [unrolled: 1-line block ×10, first 2 shown]
.LBB0_5:
	s_or_b64 exec, exec, s[4:5]
	s_waitcnt lgkmcnt(0)
	v_add_f64 v[90:91], v[38:39], -v[18:19]
	v_add_f64 v[86:87], v[36:37], -v[16:17]
	s_mov_b32 s6, 0xf8bb580b
	s_mov_b32 s7, 0xbfe14ced
	v_add_f64 v[54:55], v[36:37], v[16:17]
	v_add_f64 v[62:63], v[38:39], v[18:19]
	v_add_f64 v[98:99], v[42:43], -v[14:15]
	v_add_f64 v[94:95], v[40:41], -v[12:13]
	v_mul_f64 v[52:53], v[90:91], s[6:7]
	v_mul_f64 v[56:57], v[86:87], s[6:7]
	s_mov_b32 s4, 0x8764f0ba
	s_mov_b32 s28, 0x8eee2c13
	;; [unrolled: 1-line block ×4, first 2 shown]
	v_add_f64 v[48:49], v[40:41], v[12:13]
	v_add_f64 v[68:69], v[42:43], v[14:15]
	v_fma_f64 v[44:45], v[54:55], s[4:5], v[52:53]
	v_fma_f64 v[46:47], v[62:63], s[4:5], -v[56:57]
	v_mul_f64 v[50:51], v[98:99], s[28:29]
	v_mul_f64 v[58:59], v[94:95], s[28:29]
	v_add_f64 v[100:101], v[26:27], -v[10:11]
	v_add_f64 v[102:103], v[24:25], -v[8:9]
	s_mov_b32 s18, 0xd9c712b6
	s_mov_b32 s26, 0x43842ef
	s_mov_b32 s19, 0x3fda9628
	s_mov_b32 s27, 0xbfefac9e
	v_add_f64 v[44:45], v[0:1], v[44:45]
	v_add_f64 v[46:47], v[2:3], v[46:47]
	v_fma_f64 v[70:71], v[48:49], s[18:19], v[50:51]
	v_fma_f64 v[74:75], v[68:69], s[18:19], -v[58:59]
	v_add_f64 v[60:61], v[24:25], v[8:9]
	v_add_f64 v[72:73], v[26:27], v[10:11]
	v_mul_f64 v[64:65], v[100:101], s[26:27]
	v_mul_f64 v[66:67], v[102:103], s[26:27]
	v_add_f64 v[80:81], v[30:31], -v[6:7]
	v_add_f64 v[106:107], v[28:29], -v[4:5]
	s_mov_b32 s16, 0x640f44db
	s_mov_b32 s20, 0xbb3a28a1
	s_mov_b32 s17, 0xbfc2375f
	s_mov_b32 s21, 0xbfe82f19
	v_add_f64 v[44:45], v[70:71], v[44:45]
	v_add_f64 v[46:47], v[74:75], v[46:47]
	v_fma_f64 v[78:79], v[60:61], s[16:17], v[64:65]
	v_fma_f64 v[84:85], v[72:73], s[16:17], -v[66:67]
	v_add_f64 v[70:71], v[28:29], v[4:5]
	v_add_f64 v[82:83], v[30:31], v[6:7]
	;; [unrolled: 14-line block ×3, first 2 shown]
	v_mul_f64 v[84:85], v[92:93], s[30:31]
	v_mul_f64 v[88:89], v[104:105], s[30:31]
	s_mov_b32 s24, 0x9bcd5057
	s_mov_b32 s25, 0xbfeeb42a
	v_add_f64 v[44:45], v[108:109], v[44:45]
	v_add_f64 v[46:47], v[110:111], v[46:47]
	v_mul_lo_u16_e32 v233, 11, v226
	v_fma_f64 v[108:109], v[78:79], s[24:25], v[84:85]
	v_fma_f64 v[110:111], v[96:97], s[24:25], -v[88:89]
	s_barrier
	v_add_f64 v[44:45], v[108:109], v[44:45]
	v_add_f64 v[46:47], v[110:111], v[46:47]
	s_and_saveexec_b64 s[10:11], s[0:1]
	s_cbranch_execz .LBB0_7
; %bb.6:
	v_mul_f64 v[108:109], v[62:63], s[24:25]
	s_mov_b32 s39, 0x3fd207e7
	s_mov_b32 s38, s30
	v_mul_f64 v[110:111], v[90:91], s[30:31]
	v_mul_f64 v[112:113], v[68:69], s[4:5]
	s_mov_b32 s35, 0x3fe14ced
	s_mov_b32 s34, s6
	v_mul_f64 v[114:115], v[98:99], s[34:35]
	v_fma_f64 v[116:117], v[86:87], s[38:39], v[108:109]
	v_mul_f64 v[120:121], v[72:73], s[22:23]
	s_mov_b32 s37, 0x3fe82f19
	v_fma_f64 v[118:119], v[54:55], s[24:25], v[110:111]
	v_fma_f64 v[124:125], v[94:95], s[6:7], v[112:113]
	s_mov_b32 s36, s20
	v_mul_f64 v[122:123], v[100:101], s[20:21]
	v_fma_f64 v[126:127], v[48:49], s[4:5], v[114:115]
	v_add_f64 v[116:117], v[2:3], v[116:117]
	v_mul_f64 v[128:129], v[82:83], s[18:19]
	v_fma_f64 v[130:131], v[102:103], s[36:37], v[120:121]
	v_add_f64 v[118:119], v[0:1], v[118:119]
	v_fma_f64 v[108:109], v[86:87], s[30:31], v[108:109]
	v_fma_f64 v[110:111], v[54:55], s[24:25], -v[110:111]
	s_mov_b32 s43, 0x3fed1bb4
	s_mov_b32 s42, s28
	v_add_f64 v[116:117], v[124:125], v[116:117]
	v_fma_f64 v[132:133], v[60:61], s[22:23], v[122:123]
	v_mul_f64 v[124:125], v[80:81], s[42:43]
	v_add_f64 v[118:119], v[126:127], v[118:119]
	v_fma_f64 v[112:113], v[94:95], s[34:35], v[112:113]
	v_add_f64 v[108:109], v[2:3], v[108:109]
	v_fma_f64 v[114:115], v[48:49], s[4:5], -v[114:115]
	v_add_f64 v[110:111], v[0:1], v[110:111]
	v_fma_f64 v[126:127], v[106:107], s[28:29], v[128:129]
	v_add_f64 v[116:117], v[130:131], v[116:117]
	v_mul_f64 v[130:131], v[96:97], s[16:17]
	v_fma_f64 v[120:121], v[102:103], s[20:21], v[120:121]
	v_fma_f64 v[134:135], v[70:71], s[18:19], v[124:125]
	v_add_f64 v[108:109], v[112:113], v[108:109]
	v_add_f64 v[112:113], v[132:133], v[118:119]
	;; [unrolled: 1-line block ×3, first 2 shown]
	s_mov_b32 s41, 0x3fefac9e
	v_add_f64 v[114:115], v[126:127], v[116:117]
	v_fma_f64 v[116:117], v[60:61], s[22:23], -v[122:123]
	v_mul_f64 v[122:123], v[62:63], s[22:23]
	s_mov_b32 s40, s26
	v_fma_f64 v[118:119], v[104:105], s[40:41], v[130:131]
	v_mul_f64 v[126:127], v[92:93], s[26:27]
	v_add_f64 v[108:109], v[120:121], v[108:109]
	v_fma_f64 v[120:121], v[106:107], s[42:43], v[128:129]
	v_fma_f64 v[124:125], v[70:71], s[18:19], -v[124:125]
	v_add_f64 v[116:117], v[116:117], v[110:111]
	v_mul_f64 v[128:129], v[90:91], s[20:21]
	v_add_f64 v[112:113], v[134:135], v[112:113]
	v_fma_f64 v[132:133], v[86:87], s[36:37], v[122:123]
	v_mul_f64 v[134:135], v[68:69], s[16:17]
	v_add_f64 v[110:111], v[118:119], v[114:115]
	v_fma_f64 v[114:115], v[78:79], s[16:17], v[126:127]
	v_add_f64 v[118:119], v[120:121], v[108:109]
	v_add_f64 v[116:117], v[124:125], v[116:117]
	v_fma_f64 v[120:121], v[54:55], s[22:23], v[128:129]
	v_mul_f64 v[124:125], v[98:99], s[40:41]
	v_add_f64 v[132:133], v[2:3], v[132:133]
	v_fma_f64 v[136:137], v[94:95], s[26:27], v[134:135]
	v_mul_f64 v[138:139], v[72:73], s[4:5]
	v_fma_f64 v[130:131], v[104:105], s[26:27], v[130:131]
	v_fma_f64 v[126:127], v[78:79], s[16:17], -v[126:127]
	v_add_f64 v[108:109], v[114:115], v[112:113]
	v_add_f64 v[120:121], v[0:1], v[120:121]
	v_fma_f64 v[140:141], v[48:49], s[16:17], v[124:125]
	v_mul_f64 v[142:143], v[100:101], s[6:7]
	v_add_f64 v[132:133], v[136:137], v[132:133]
	v_fma_f64 v[136:137], v[102:103], s[34:35], v[138:139]
	v_add_f64 v[114:115], v[130:131], v[118:119]
	v_fma_f64 v[118:119], v[86:87], s[20:21], v[122:123]
	v_add_f64 v[112:113], v[126:127], v[116:117]
	v_mul_f64 v[116:117], v[82:83], s[24:25]
	v_add_f64 v[120:121], v[140:141], v[120:121]
	v_fma_f64 v[122:123], v[60:61], s[4:5], v[142:143]
	v_fma_f64 v[128:129], v[54:55], s[22:23], -v[128:129]
	v_add_f64 v[126:127], v[136:137], v[132:133]
	v_mul_f64 v[130:131], v[80:81], s[30:31]
	v_fma_f64 v[132:133], v[94:95], s[40:41], v[134:135]
	v_add_f64 v[118:119], v[2:3], v[118:119]
	v_fma_f64 v[134:135], v[106:107], s[38:39], v[116:117]
	v_fma_f64 v[124:125], v[48:49], s[16:17], -v[124:125]
	v_add_f64 v[120:121], v[122:123], v[120:121]
	v_mul_f64 v[122:123], v[96:97], s[18:19]
	v_add_f64 v[128:129], v[0:1], v[128:129]
	v_fma_f64 v[136:137], v[70:71], s[24:25], v[130:131]
	v_mul_f64 v[140:141], v[92:93], s[42:43]
	v_add_f64 v[118:119], v[132:133], v[118:119]
	v_fma_f64 v[132:133], v[102:103], s[6:7], v[138:139]
	v_add_f64 v[38:39], v[2:3], v[38:39]
	v_add_f64 v[36:37], v[0:1], v[36:37]
	;; [unrolled: 1-line block ×3, first 2 shown]
	v_fma_f64 v[134:135], v[104:105], s[28:29], v[122:123]
	v_add_f64 v[124:125], v[124:125], v[128:129]
	v_fma_f64 v[128:129], v[60:61], s[4:5], -v[142:143]
	v_add_f64 v[120:121], v[136:137], v[120:121]
	v_fma_f64 v[136:137], v[78:79], s[18:19], v[140:141]
	v_add_f64 v[118:119], v[132:133], v[118:119]
	v_fma_f64 v[116:117], v[106:107], s[30:31], v[116:117]
	v_add_f64 v[42:43], v[38:39], v[42:43]
	v_add_f64 v[40:41], v[36:37], v[40:41]
	v_add_f64 v[38:39], v[134:135], v[126:127]
	v_add_f64 v[124:125], v[128:129], v[124:125]
	v_fma_f64 v[126:127], v[70:71], s[24:25], -v[130:131]
	v_add_f64 v[36:37], v[136:137], v[120:121]
	v_mul_f64 v[120:121], v[62:63], s[16:17]
	v_add_f64 v[116:117], v[116:117], v[118:119]
	v_fma_f64 v[118:119], v[104:105], s[42:43], v[122:123]
	v_mul_f64 v[122:123], v[90:91], s[26:27]
	v_add_f64 v[42:43], v[42:43], v[26:27]
	v_add_f64 v[24:25], v[40:41], v[24:25]
	;; [unrolled: 1-line block ×3, first 2 shown]
	v_mul_f64 v[124:125], v[68:69], s[24:25]
	v_fma_f64 v[126:127], v[86:87], s[40:41], v[120:121]
	v_fma_f64 v[128:129], v[78:79], s[18:19], -v[140:141]
	v_add_f64 v[26:27], v[118:119], v[116:117]
	v_fma_f64 v[116:117], v[54:55], s[16:17], v[122:123]
	v_mul_f64 v[118:119], v[98:99], s[38:39]
	v_add_f64 v[30:31], v[42:43], v[30:31]
	v_add_f64 v[28:29], v[24:25], v[28:29]
	v_fma_f64 v[42:43], v[94:95], s[30:31], v[124:125]
	v_add_f64 v[126:127], v[2:3], v[126:127]
	v_mul_f64 v[130:131], v[72:73], s[18:19]
	v_add_f64 v[24:25], v[128:129], v[40:41]
	v_add_f64 v[40:41], v[0:1], v[116:117]
	v_fma_f64 v[116:117], v[48:49], s[24:25], v[118:119]
	v_mul_f64 v[128:129], v[100:101], s[42:43]
	v_add_f64 v[30:31], v[30:31], v[34:35]
	v_add_f64 v[28:29], v[28:29], v[32:33]
	;; [unrolled: 1-line block ×3, first 2 shown]
	v_fma_f64 v[34:35], v[102:103], s[28:29], v[130:131]
	v_fma_f64 v[42:43], v[86:87], s[26:27], v[120:121]
	v_mul_f64 v[120:121], v[82:83], s[4:5]
	v_add_f64 v[40:41], v[116:117], v[40:41]
	v_fma_f64 v[116:117], v[60:61], s[18:19], v[128:129]
	v_mul_f64 v[126:127], v[80:81], s[6:7]
	v_add_f64 v[22:23], v[30:31], v[22:23]
	v_fma_f64 v[30:31], v[94:95], s[38:39], v[124:125]
	v_fma_f64 v[122:123], v[54:55], s[16:17], -v[122:123]
	v_add_f64 v[42:43], v[2:3], v[42:43]
	v_add_f64 v[32:33], v[34:35], v[32:33]
	v_fma_f64 v[34:35], v[106:107], s[34:35], v[120:121]
	v_add_f64 v[40:41], v[116:117], v[40:41]
	v_fma_f64 v[116:117], v[70:71], s[4:5], v[126:127]
	v_mul_f64 v[124:125], v[62:63], s[18:19]
	v_fma_f64 v[118:119], v[48:49], s[24:25], -v[118:119]
	v_add_f64 v[122:123], v[0:1], v[122:123]
	v_add_f64 v[30:31], v[30:31], v[42:43]
	v_fma_f64 v[42:43], v[102:103], s[42:43], v[130:131]
	v_add_f64 v[28:29], v[28:29], v[20:21]
	v_add_f64 v[20:21], v[34:35], v[32:33]
	;; [unrolled: 1-line block ×3, first 2 shown]
	v_fma_f64 v[34:35], v[86:87], s[42:43], v[124:125]
	v_mul_f64 v[40:41], v[68:69], s[22:23]
	v_add_f64 v[116:117], v[118:119], v[122:123]
	v_fma_f64 v[118:119], v[60:61], s[18:19], -v[128:129]
	v_add_f64 v[30:31], v[42:43], v[30:31]
	v_mul_f64 v[42:43], v[90:91], s[28:29]
	v_fma_f64 v[90:91], v[106:107], s[6:7], v[120:121]
	v_fma_f64 v[86:87], v[86:87], s[28:29], v[124:125]
	v_add_f64 v[34:35], v[2:3], v[34:35]
	v_fma_f64 v[120:121], v[94:95], s[36:37], v[40:41]
	v_mul_f64 v[122:123], v[72:73], s[24:25]
	v_add_f64 v[116:117], v[118:119], v[116:117]
	v_mul_f64 v[98:99], v[98:99], s[20:21]
	v_fma_f64 v[118:119], v[54:55], s[18:19], v[42:43]
	v_fma_f64 v[40:41], v[94:95], s[20:21], v[40:41]
	v_add_f64 v[86:87], v[2:3], v[86:87]
	v_fma_f64 v[124:125], v[70:71], s[4:5], -v[126:127]
	v_add_f64 v[34:35], v[120:121], v[34:35]
	v_fma_f64 v[94:95], v[102:103], s[30:31], v[122:123]
	v_mul_f64 v[120:121], v[82:83], s[16:17]
	v_fma_f64 v[126:127], v[48:49], s[22:23], v[98:99]
	v_add_f64 v[118:119], v[0:1], v[118:119]
	v_fma_f64 v[102:103], v[102:103], s[38:39], v[122:123]
	v_add_f64 v[40:41], v[40:41], v[86:87]
	v_mul_f64 v[62:63], v[62:63], s[4:5]
	v_fma_f64 v[42:43], v[54:55], s[18:19], -v[42:43]
	v_add_f64 v[34:35], v[94:95], v[34:35]
	v_fma_f64 v[86:87], v[106:107], s[26:27], v[120:121]
	v_fma_f64 v[106:107], v[106:107], s[40:41], v[120:121]
	v_add_f64 v[94:95], v[126:127], v[118:119]
	v_mul_f64 v[118:119], v[96:97], s[4:5]
	v_add_f64 v[40:41], v[102:103], v[40:41]
	v_mul_f64 v[102:103], v[96:97], s[22:23]
	;; [unrolled: 2-line block ×4, first 2 shown]
	v_mul_f64 v[54:55], v[68:69], s[18:19]
	v_mul_f64 v[100:101], v[100:101], s[38:39]
	v_add_f64 v[40:41], v[106:107], v[40:41]
	v_fma_f64 v[62:63], v[104:105], s[36:37], v[102:103]
	v_fma_f64 v[68:69], v[104:105], s[20:21], v[102:103]
	v_fma_f64 v[102:103], v[104:105], s[34:35], v[118:119]
	v_mul_f64 v[106:107], v[60:61], s[16:17]
	v_add_f64 v[52:53], v[86:87], -v[52:53]
	v_fma_f64 v[86:87], v[104:105], s[6:7], v[118:119]
	v_mul_f64 v[104:105], v[48:49], s[18:19]
	v_add_f64 v[56:57], v[2:3], v[56:57]
	v_add_f64 v[54:55], v[58:59], v[54:55]
	v_fma_f64 v[48:49], v[48:49], s[22:23], -v[98:99]
	v_add_f64 v[6:7], v[22:23], v[6:7]
	v_add_f64 v[4:5], v[28:29], v[4:5]
	;; [unrolled: 1-line block ×4, first 2 shown]
	v_add_f64 v[50:51], v[104:105], -v[50:51]
	v_mul_f64 v[42:43], v[70:71], s[22:23]
	v_mul_f64 v[58:59], v[82:83], s[22:23]
	v_add_f64 v[66:67], v[66:67], v[72:73]
	v_add_f64 v[54:55], v[54:55], v[56:57]
	v_add_f64 v[56:57], v[106:107], -v[64:65]
	v_add_f64 v[30:31], v[90:91], v[30:31]
	v_add_f64 v[90:91], v[124:125], v[116:117]
	;; [unrolled: 1-line block ×3, first 2 shown]
	v_fma_f64 v[116:117], v[60:61], s[24:25], v[100:101]
	v_mul_f64 v[80:81], v[80:81], s[40:41]
	v_fma_f64 v[60:61], v[60:61], s[24:25], -v[100:101]
	v_add_f64 v[0:1], v[48:49], v[0:1]
	v_add_f64 v[6:7], v[6:7], v[10:11]
	;; [unrolled: 1-line block ×3, first 2 shown]
	v_mul_f64 v[82:83], v[78:79], s[24:25]
	v_mul_f64 v[96:97], v[96:97], s[24:25]
	v_add_f64 v[48:49], v[76:77], v[58:59]
	v_add_f64 v[50:51], v[66:67], v[54:55]
	v_add_f64 v[42:43], v[42:43], -v[74:75]
	v_add_f64 v[8:9], v[56:57], v[22:23]
	v_add_f64 v[2:3], v[62:63], v[20:21]
	;; [unrolled: 1-line block ×3, first 2 shown]
	v_mul_f64 v[68:69], v[92:93], s[34:35]
	v_fma_f64 v[28:29], v[70:71], s[16:17], -v[80:81]
	v_add_f64 v[0:1], v[60:61], v[0:1]
	v_add_f64 v[94:95], v[116:117], v[94:95]
	v_mul_f64 v[116:117], v[92:93], s[20:21]
	v_fma_f64 v[92:93], v[70:71], s[16:17], v[80:81]
	v_add_f64 v[14:15], v[6:7], v[14:15]
	v_add_f64 v[4:5], v[4:5], v[12:13]
	;; [unrolled: 1-line block ×4, first 2 shown]
	v_add_f64 v[50:51], v[82:83], -v[84:85]
	v_add_f64 v[8:9], v[42:43], v[8:9]
	v_fma_f64 v[22:23], v[78:79], s[4:5], -v[68:69]
	v_add_f64 v[0:1], v[28:29], v[0:1]
	v_fma_f64 v[30:31], v[78:79], s[22:23], -v[116:117]
	v_fma_f64 v[62:63], v[78:79], s[22:23], v[116:117]
	v_fma_f64 v[28:29], v[78:79], s[4:5], v[68:69]
	v_add_f64 v[42:43], v[92:93], v[94:95]
	v_add_f64 v[14:15], v[14:15], v[18:19]
	;; [unrolled: 1-line block ×8, first 2 shown]
	v_lshlrev_b32_e32 v16, 4, v233
	v_add_f64 v[0:1], v[62:63], v[32:33]
	v_add_f64 v[30:31], v[86:87], v[34:35]
	;; [unrolled: 1-line block ×3, first 2 shown]
	ds_write_b128 v16, v[12:15]
	ds_write_b128 v16, v[8:11] offset:16
	ds_write_b128 v16, v[4:7] offset:32
	;; [unrolled: 1-line block ×10, first 2 shown]
.LBB0_7:
	s_or_b64 exec, exec, s[10:11]
	s_load_dwordx4 s[4:7], s[2:3], 0x0
	s_movk_i32 s2, 0x134
	v_add_co_u32_e32 v1, vcc, s2, v226
	s_movk_i32 s2, 0x1ce
	v_add_co_u32_e32 v2, vcc, s2, v226
	;; [unrolled: 2-line block ×3, first 2 shown]
	s_movk_i32 s2, 0x75
	v_mul_lo_u16_sdwa v0, v226, s2 dst_sel:DWORD dst_unused:UNUSED_PAD src0_sel:BYTE_0 src1_sel:DWORD
	s_mov_b32 s2, 0xba2f
	v_mul_u32_u24_sdwa v6, v1, s2 dst_sel:DWORD dst_unused:UNUSED_PAD src0_sel:WORD_0 src1_sel:DWORD
	v_sub_u16_sdwa v4, v226, v0 dst_sel:DWORD dst_unused:UNUSED_PAD src0_sel:DWORD src1_sel:BYTE_1
	v_lshrrev_b32_e32 v68, 19, v6
	v_lshrrev_b16_e32 v4, 1, v4
	v_mul_lo_u16_e32 v6, 11, v68
	v_and_b32_e32 v4, 0x7f, v4
	v_sub_u16_e32 v69, v1, v6
	v_mul_u32_u24_sdwa v6, v2, s2 dst_sel:DWORD dst_unused:UNUSED_PAD src0_sel:WORD_0 src1_sel:DWORD
	v_add_u16_sdwa v0, v4, v0 dst_sel:DWORD dst_unused:UNUSED_PAD src0_sel:DWORD src1_sel:BYTE_1
	v_lshrrev_b32_e32 v70, 19, v6
	v_lshrrev_b16_e32 v21, 3, v0
	v_mul_lo_u16_e32 v6, 11, v70
	v_mul_lo_u16_e32 v0, 11, v21
	v_lshlrev_b32_e32 v1, 4, v69
	v_sub_u16_e32 v71, v2, v6
	s_waitcnt lgkmcnt(0)
	s_barrier
	v_sub_u16_e32 v0, v226, v0
	v_add_u16_e32 v124, 0x9a, v226
	v_lshlrev_b32_e32 v2, 4, v71
	global_load_dwordx4 v[28:31], v1, s[8:9]
	global_load_dwordx4 v[24:27], v2, s[8:9]
	v_mul_u32_u24_sdwa v1, v3, s2 dst_sel:DWORD dst_unused:UNUSED_PAD src0_sel:WORD_0 src1_sel:DWORD
	v_and_b32_e32 v22, 0xff, v0
	v_mul_u32_u24_e32 v0, 0xba2f, v124
	v_lshrrev_b32_e32 v72, 19, v1
	v_lshrrev_b32_e32 v23, 19, v0
	v_mul_lo_u16_e32 v1, 11, v72
	v_mul_lo_u16_e32 v5, 11, v23
	v_sub_u16_e32 v73, v3, v1
	v_lshlrev_b32_e32 v4, 4, v22
	v_lshlrev_b32_e32 v1, 4, v73
	v_sub_u16_e32 v74, v124, v5
	global_load_dwordx4 v[32:35], v1, s[8:9]
	global_load_dwordx4 v[36:39], v4, s[8:9]
	v_lshlrev_b32_e32 v1, 4, v74
	global_load_dwordx4 v[40:43], v1, s[8:9]
	v_mov_b32_e32 v1, 4
	v_lshlrev_b32_sdwa v227, v1, v226 dst_sel:DWORD dst_unused:UNUSED_PAD src0_sel:DWORD src1_sel:WORD_0
	ds_read_b128 v[1:4], v227
	ds_read_b128 v[5:8], v227 offset:2464
	ds_read_b128 v[9:12], v227 offset:14784
	;; [unrolled: 1-line block ×9, first 2 shown]
	v_mad_legacy_u16 v23, v23, 22, v74
	v_lshlrev_b32_e32 v234, 4, v23
	v_mad_legacy_u16 v23, v68, 22, v69
	v_mad_legacy_u16 v68, v70, 22, v71
	v_mad_legacy_u16 v69, v72, 22, v73
	v_mul_u32_u24_e32 v21, 22, v21
	v_lshlrev_b32_e32 v253, 4, v23
	v_lshlrev_b32_e32 v255, 4, v68
	;; [unrolled: 1-line block ×3, first 2 shown]
	v_add_lshl_u32 v254, v21, v22, 4
	s_waitcnt vmcnt(0) lgkmcnt(0)
	s_barrier
	s_movk_i32 s2, 0x42
	v_cmp_gt_u16_e64 s[2:3], s2, v226
                                        ; implicit-def: $vgpr116_vgpr117
                                        ; implicit-def: $vgpr120_vgpr121
	v_mul_f64 v[21:22], v[15:16], v[30:31]
	v_mul_f64 v[68:69], v[13:14], v[30:31]
	;; [unrolled: 1-line block ×4, first 2 shown]
	v_fma_f64 v[13:14], v[13:14], v[28:29], -v[21:22]
	v_fma_f64 v[15:16], v[15:16], v[28:29], v[68:69]
	v_fma_f64 v[21:22], v[60:61], v[24:25], -v[70:71]
	v_fma_f64 v[68:69], v[62:63], v[24:25], v[72:73]
	v_mul_f64 v[74:75], v[66:67], v[34:35]
	v_mul_f64 v[78:79], v[50:51], v[38:39]
	v_mul_f64 v[80:81], v[48:49], v[38:39]
	v_mul_f64 v[82:83], v[11:12], v[42:43]
	v_mul_f64 v[84:85], v[9:10], v[42:43]
	v_mul_f64 v[76:77], v[64:65], v[34:35]
	v_fma_f64 v[64:65], v[64:65], v[32:33], -v[74:75]
	v_fma_f64 v[60:61], v[48:49], v[36:37], -v[78:79]
	v_fma_f64 v[50:51], v[50:51], v[36:37], v[80:81]
	v_fma_f64 v[62:63], v[9:10], v[40:41], -v[82:83]
	v_fma_f64 v[70:71], v[11:12], v[40:41], v[84:85]
	v_fma_f64 v[66:67], v[66:67], v[32:33], v[76:77]
	v_add_f64 v[9:10], v[17:18], -v[13:14]
	v_add_f64 v[11:12], v[19:20], -v[15:16]
	;; [unrolled: 1-line block ×10, first 2 shown]
	v_fma_f64 v[17:18], v[17:18], 2.0, -v[9:10]
	v_fma_f64 v[1:2], v[1:2], 2.0, -v[13:14]
	;; [unrolled: 1-line block ×10, first 2 shown]
	ds_write_b128 v254, v[13:16] offset:176
	ds_write_b128 v254, v[1:4]
	ds_write_b128 v234, v[5:8]
	ds_write_b128 v234, v[60:63] offset:176
	ds_write_b128 v253, v[17:20]
	ds_write_b128 v253, v[9:12] offset:176
	;; [unrolled: 2-line block ×4, first 2 shown]
	s_waitcnt lgkmcnt(0)
	s_barrier
	ds_read_b128 v[52:55], v227
	ds_read_b128 v[108:111], v227 offset:3520
	ds_read_b128 v[104:107], v227 offset:7040
	;; [unrolled: 1-line block ×6, first 2 shown]
                                        ; implicit-def: $vgpr56_vgpr57
	s_and_saveexec_b64 s[10:11], s[2:3]
	s_cbranch_execz .LBB0_9
; %bb.8:
	ds_read_b128 v[48:51], v227 offset:2464
	ds_read_b128 v[100:103], v227 offset:5984
	;; [unrolled: 1-line block ×7, first 2 shown]
.LBB0_9:
	s_or_b64 exec, exec, s[10:11]
	v_lshrrev_b32_e32 v0, 20, v0
	buffer_store_dword v0, off, s[44:47], 0 offset:36 ; 4-byte Folded Spill
	v_mul_lo_u16_e32 v0, 22, v0
	v_sub_u16_e32 v0, v124, v0
	buffer_store_dword v0, off, s[44:47], 0 ; 4-byte Folded Spill
	v_mul_lo_u16_e32 v0, 0x60, v0
	v_mov_b32_e32 v2, s9
	v_add_co_u32_e32 v60, vcc, s8, v0
	v_lshrrev_b16_e32 v1, 1, v226
	v_addc_co_u32_e32 v61, vcc, 0, v2, vcc
	v_and_b32_e32 v1, 0x7f, v1
	global_load_dwordx4 v[249:252], v[60:61], off offset:192
	global_load_dwordx4 v[245:248], v[60:61], off offset:176
	;; [unrolled: 1-line block ×4, first 2 shown]
	v_mul_lo_u16_e32 v1, 0xbb, v1
	v_lshrrev_b16_e32 v125, 11, v1
	v_mul_lo_u16_e32 v1, 22, v125
	v_sub_u16_e32 v1, v226, v1
	v_mov_b32_e32 v17, s9
	v_and_b32_e32 v0, 0xff, v1
	s_movk_i32 s10, 0x60
	v_mov_b32_e32 v16, s8
	v_mad_u64_u32 v[72:73], s[10:11], v0, s10, v[16:17]
	global_load_dwordx4 v[5:8], v[60:61], off offset:240
	global_load_dwordx4 v[1:4], v[60:61], off offset:256
	global_load_dwordx4 v[80:83], v[72:73], off offset:176
	global_load_dwordx4 v[76:79], v[72:73], off offset:192
                                        ; kill: killed $vgpr60 killed $vgpr61
	global_load_dwordx4 v[64:67], v[72:73], off offset:208
	s_nop 0
	global_load_dwordx4 v[60:63], v[72:73], off offset:224
	global_load_dwordx4 v[68:71], v[72:73], off offset:240
	s_nop 0
	global_load_dwordx4 v[72:75], v[72:73], off offset:256
	s_mov_b32 s16, 0x37e14327
	s_mov_b32 s10, 0x36b3c0b5
	;; [unrolled: 1-line block ×20, first 2 shown]
	s_waitcnt vmcnt(11) lgkmcnt(4)
	v_mul_f64 v[130:131], v[98:99], v[251:252]
	s_waitcnt vmcnt(10)
	v_mul_f64 v[126:127], v[102:103], v[247:248]
	s_waitcnt vmcnt(8) lgkmcnt(3)
	v_mul_f64 v[134:135], v[46:47], v[243:244]
	v_mul_f64 v[136:137], v[44:45], v[243:244]
	;; [unrolled: 1-line block ×3, first 2 shown]
	s_waitcnt vmcnt(7) lgkmcnt(1)
	v_mul_f64 v[142:143], v[122:123], v[7:8]
	v_mul_f64 v[144:145], v[120:121], v[7:8]
	s_waitcnt vmcnt(6) lgkmcnt(0)
	v_mul_f64 v[146:147], v[58:59], v[3:4]
	v_mul_f64 v[148:149], v[56:57], v[3:4]
	;; [unrolled: 1-line block ×3, first 2 shown]
	v_fma_f64 v[44:45], v[44:45], v[241:242], -v[134:135]
	s_waitcnt vmcnt(5)
	v_mul_f64 v[150:151], v[110:111], v[82:83]
	v_mul_f64 v[152:153], v[108:109], v[82:83]
	v_fma_f64 v[134:135], v[120:121], v[5:6], -v[142:143]
	buffer_store_dword v5, off, s[44:47], 0 offset:20 ; 4-byte Folded Spill
	s_nop 0
	buffer_store_dword v6, off, s[44:47], 0 offset:24 ; 4-byte Folded Spill
	buffer_store_dword v7, off, s[44:47], 0 offset:28 ; 4-byte Folded Spill
	;; [unrolled: 1-line block ×3, first 2 shown]
	v_fma_f64 v[56:57], v[56:57], v[1:2], -v[146:147]
	buffer_store_dword v1, off, s[44:47], 0 offset:4 ; 4-byte Folded Spill
	s_nop 0
	buffer_store_dword v2, off, s[44:47], 0 offset:8 ; 4-byte Folded Spill
	buffer_store_dword v3, off, s[44:47], 0 offset:12 ; 4-byte Folded Spill
	;; [unrolled: 1-line block ×3, first 2 shown]
	s_waitcnt vmcnt(12)
	v_mul_f64 v[154:155], v[106:107], v[78:79]
	v_mul_f64 v[156:157], v[104:105], v[78:79]
	s_waitcnt vmcnt(9)
	v_mul_f64 v[167:168], v[94:95], v[70:71]
	v_mul_f64 v[169:170], v[92:93], v[70:71]
	s_waitcnt vmcnt(8)
	v_mul_f64 v[171:172], v[114:115], v[74:75]
	v_mul_f64 v[173:174], v[112:113], v[74:75]
	v_mul_f64 v[158:159], v[90:91], v[66:67]
	v_mul_f64 v[160:161], v[88:89], v[66:67]
	;; [unrolled: 1-line block ×4, first 2 shown]
	v_fma_f64 v[175:176], v[100:101], v[245:246], -v[126:127]
	v_fma_f64 v[177:178], v[102:103], v[245:246], v[128:129]
	v_fma_f64 v[179:180], v[96:97], v[249:250], -v[130:131]
	v_fma_f64 v[181:182], v[98:99], v[249:250], v[132:133]
	;; [unrolled: 2-line block ×8, first 2 shown]
	v_add_f64 v[108:109], v[96:97], v[104:105]
	v_add_f64 v[110:111], v[98:99], v[106:107]
	v_add_f64 v[96:97], v[96:97], -v[104:105]
	v_add_f64 v[98:99], v[98:99], -v[106:107]
	v_add_f64 v[104:105], v[100:101], v[92:93]
	v_add_f64 v[106:107], v[102:103], v[94:95]
	v_add_f64 v[92:93], v[100:101], -v[92:93]
	v_add_f64 v[94:95], v[102:103], -v[94:95]
	;; [unrolled: 4-line block ×3, first 2 shown]
	v_add_f64 v[88:89], v[104:105], v[108:109]
	v_add_f64 v[90:91], v[106:107], v[110:111]
	v_fma_f64 v[46:47], v[46:47], v[241:242], v[136:137]
	v_add_f64 v[112:113], v[104:105], -v[108:109]
	v_add_f64 v[114:115], v[106:107], -v[110:111]
	;; [unrolled: 1-line block ×6, first 2 shown]
	v_add_f64 v[120:121], v[84:85], v[92:93]
	v_add_f64 v[126:127], v[84:85], -v[92:93]
	v_add_f64 v[128:129], v[86:87], -v[94:95]
	;; [unrolled: 1-line block ×3, first 2 shown]
	v_add_f64 v[100:101], v[100:101], v[88:89]
	v_add_f64 v[102:103], v[102:103], v[90:91]
	v_add_f64 v[84:85], v[96:97], -v[84:85]
	v_mul_f64 v[108:109], v[108:109], s[16:17]
	v_add_f64 v[96:97], v[120:121], v[96:97]
	v_mul_f64 v[110:111], v[110:111], s[16:17]
	v_mul_f64 v[120:121], v[104:105], s[10:11]
	;; [unrolled: 1-line block ×4, first 2 shown]
	v_add_f64 v[88:89], v[52:53], v[100:101]
	v_add_f64 v[90:91], v[54:55], v[102:103]
	v_mul_f64 v[52:53], v[92:93], s[18:19]
	v_fma_f64 v[104:105], v[104:105], s[10:11], v[108:109]
	v_fma_f64 v[108:109], v[112:113], s[26:27], -v[108:109]
	v_fma_f64 v[120:121], v[112:113], s[24:25], -v[120:121]
	v_fma_f64 v[112:113], v[84:85], s[30:31], v[126:127]
	v_mul_f64 v[138:139], v[118:119], v[239:240]
	v_fma_f64 v[100:101], v[100:101], s[22:23], v[88:89]
	v_fma_f64 v[102:103], v[102:103], s[22:23], v[90:91]
	v_fma_f64 v[52:53], v[84:85], s[34:35], -v[52:53]
	v_mul_f64 v[140:141], v[116:117], v[239:240]
	v_fma_f64 v[92:93], v[92:93], s[18:19], -v[126:127]
	v_fma_f64 v[136:137], v[122:123], v[5:6], v[144:145]
	v_add_f64 v[122:123], v[86:87], v[94:95]
	v_add_f64 v[94:95], v[94:95], -v[98:99]
	v_add_f64 v[86:87], v[98:99], -v[86:87]
	v_add_f64 v[84:85], v[104:105], v[100:101]
	v_add_f64 v[108:109], v[108:109], v[100:101]
	v_fma_f64 v[112:113], v[96:97], s[28:29], v[112:113]
	v_fma_f64 v[52:53], v[96:97], s[28:29], v[52:53]
	;; [unrolled: 1-line block ×3, first 2 shown]
	v_add_f64 v[98:99], v[122:123], v[98:99]
	v_mul_f64 v[122:123], v[106:107], s[10:11]
	v_mul_f64 v[54:55], v[94:95], s[18:19]
	v_fma_f64 v[106:107], v[106:107], s[10:11], v[110:111]
	v_fma_f64 v[110:111], v[114:115], s[26:27], -v[110:111]
	v_fma_f64 v[94:95], v[94:95], s[18:19], -v[128:129]
	;; [unrolled: 1-line block ×3, first 2 shown]
	v_fma_f64 v[118:119], v[118:119], v[237:238], v[140:141]
	v_add_f64 v[104:105], v[120:121], v[100:101]
	v_fma_f64 v[122:123], v[114:115], s[24:25], -v[122:123]
	v_fma_f64 v[114:115], v[86:87], s[30:31], v[128:129]
	v_fma_f64 v[54:55], v[86:87], s[34:35], -v[54:55]
	v_add_f64 v[86:87], v[106:107], v[102:103]
	v_add_f64 v[110:111], v[110:111], v[102:103]
	v_fma_f64 v[120:121], v[98:99], s[28:29], v[94:95]
	v_mul_u32_u24_e32 v1, 0x9a, v125
	v_add_lshl_u32 v236, v1, v0, 4
	v_add_f64 v[106:107], v[122:123], v[102:103]
	v_fma_f64 v[114:115], v[98:99], s[28:29], v[114:115]
	v_fma_f64 v[54:55], v[98:99], s[28:29], v[54:55]
	;; [unrolled: 1-line block ×3, first 2 shown]
	v_add_f64 v[94:95], v[86:87], -v[112:113]
	v_add_f64 v[98:99], v[110:111], -v[52:53]
	v_add_f64 v[128:129], v[52:53], v[110:111]
	v_add_f64 v[132:133], v[112:113], v[86:87]
	v_add_f64 v[52:53], v[175:176], v[56:57]
	v_add_f64 v[92:93], v[114:115], v[84:85]
	v_add_f64 v[96:97], v[54:55], v[108:109]
	v_add_f64 v[126:127], v[108:109], -v[54:55]
	v_add_f64 v[130:131], v[84:85], -v[114:115]
	v_add_f64 v[54:55], v[177:178], v[58:59]
	v_add_f64 v[84:85], v[179:180], v[134:135]
	;; [unrolled: 1-line block ×3, first 2 shown]
	v_add_f64 v[100:101], v[104:105], -v[120:121]
	v_add_f64 v[102:103], v[122:123], v[106:107]
	v_add_f64 v[120:121], v[120:121], v[104:105]
	v_add_f64 v[122:123], v[106:107], -v[122:123]
	v_add_f64 v[56:57], v[175:176], -v[56:57]
	;; [unrolled: 1-line block ×5, first 2 shown]
	v_add_f64 v[108:109], v[44:45], v[116:117]
	v_add_f64 v[110:111], v[46:47], v[118:119]
	v_add_f64 v[44:45], v[116:117], -v[44:45]
	v_add_f64 v[46:47], v[118:119], -v[46:47]
	v_add_f64 v[112:113], v[84:85], v[52:53]
	v_add_f64 v[114:115], v[86:87], v[54:55]
	v_add_f64 v[116:117], v[84:85], -v[52:53]
	v_add_f64 v[118:119], v[86:87], -v[54:55]
	;; [unrolled: 1-line block ×6, first 2 shown]
	v_add_f64 v[134:135], v[44:45], v[104:105]
	v_add_f64 v[136:137], v[46:47], v[106:107]
	v_add_f64 v[138:139], v[44:45], -v[104:105]
	v_add_f64 v[140:141], v[46:47], -v[106:107]
	v_add_f64 v[108:109], v[108:109], v[112:113]
	v_add_f64 v[110:111], v[110:111], v[114:115]
	v_add_f64 v[104:105], v[104:105], -v[56:57]
	v_add_f64 v[106:107], v[106:107], -v[58:59]
	;; [unrolled: 1-line block ×4, first 2 shown]
	v_add_f64 v[134:135], v[134:135], v[56:57]
	v_add_f64 v[56:57], v[136:137], v[58:59]
	;; [unrolled: 1-line block ×4, first 2 shown]
	v_mul_f64 v[48:49], v[52:53], s[16:17]
	v_mul_f64 v[50:51], v[54:55], s[16:17]
	;; [unrolled: 1-line block ×8, first 2 shown]
	v_fma_f64 v[108:109], v[108:109], s[22:23], v[44:45]
	v_fma_f64 v[110:111], v[110:111], s[22:23], v[46:47]
	;; [unrolled: 1-line block ×4, first 2 shown]
	v_fma_f64 v[52:53], v[116:117], s[24:25], -v[52:53]
	v_fma_f64 v[54:55], v[118:119], s[24:25], -v[54:55]
	;; [unrolled: 1-line block ×4, first 2 shown]
	v_fma_f64 v[142:143], v[112:113], s[30:31], v[58:59]
	v_fma_f64 v[144:145], v[114:115], s[30:31], v[136:137]
	v_fma_f64 v[106:107], v[106:107], s[18:19], -v[136:137]
	v_fma_f64 v[58:59], v[104:105], s[18:19], -v[58:59]
	;; [unrolled: 1-line block ×4, first 2 shown]
	v_add_f64 v[48:49], v[84:85], v[108:109]
	v_add_f64 v[50:51], v[86:87], v[110:111]
	;; [unrolled: 1-line block ×4, first 2 shown]
	v_fma_f64 v[106:107], v[56:57], s[28:29], v[106:107]
	v_fma_f64 v[138:139], v[134:135], s[28:29], v[58:59]
	v_add_f64 v[52:53], v[116:117], v[108:109]
	v_add_f64 v[84:85], v[118:119], v[110:111]
	v_fma_f64 v[54:55], v[56:57], s[28:29], v[112:113]
	v_fma_f64 v[86:87], v[134:135], s[28:29], v[104:105]
	;; [unrolled: 1-line block ×4, first 2 shown]
	v_add_f64 v[116:117], v[114:115], -v[106:107]
	v_add_f64 v[118:119], v[138:139], v[136:137]
	v_add_f64 v[108:109], v[106:107], v[114:115]
	v_add_f64 v[110:111], v[136:137], -v[138:139]
	v_add_f64 v[112:113], v[52:53], -v[54:55]
	v_add_f64 v[114:115], v[86:87], v[84:85]
	v_add_f64 v[12:13], v[48:49], -v[56:57]
	v_add_f64 v[14:15], v[58:59], v[50:51]
	s_waitcnt vmcnt(0)
	s_barrier
	ds_write_b128 v236, v[88:91]
	ds_write_b128 v236, v[92:95] offset:352
	ds_write_b128 v236, v[96:99] offset:704
	;; [unrolled: 1-line block ×6, first 2 shown]
	s_and_saveexec_b64 s[10:11], s[2:3]
	s_cbranch_execz .LBB0_11
; %bb.10:
	buffer_load_dword v1, off, s[44:47], 0  ; 4-byte Folded Reload
	v_add_f64 v[50:51], v[50:51], -v[58:59]
	v_add_f64 v[48:49], v[56:57], v[48:49]
	v_add_f64 v[86:87], v[84:85], -v[86:87]
	v_add_f64 v[84:85], v[54:55], v[52:53]
	v_mul_u32_u24_e32 v0, 0xba2f, v124
	v_lshrrev_b32_e32 v0, 20, v0
	s_movk_i32 s16, 0x9a
	s_waitcnt vmcnt(0)
	v_mad_legacy_u16 v0, v0, s16, v1
	v_lshlrev_b32_e32 v0, 4, v0
	ds_write_b128 v0, v[44:47]
	ds_write_b128 v0, v[48:51] offset:352
	ds_write_b128 v0, v[84:87] offset:704
	;; [unrolled: 1-line block ×6, first 2 shown]
.LBB0_11:
	s_or_b64 exec, exec, s[10:11]
	v_lshlrev_b32_e32 v0, 6, v226
	s_waitcnt lgkmcnt(0)
	s_barrier
	global_load_dwordx4 v[56:59], v0, s[8:9] offset:2288
	global_load_dwordx4 v[52:55], v0, s[8:9] offset:2304
	;; [unrolled: 1-line block ×4, first 2 shown]
	ds_read_b128 v[84:87], v227
	ds_read_b128 v[88:91], v227 offset:2464
	ds_read_b128 v[92:95], v227 offset:4928
	;; [unrolled: 1-line block ×9, first 2 shown]
	s_mov_b32 s18, 0x134454ff
	s_mov_b32 s19, 0x3fee6f0e
	;; [unrolled: 1-line block ×5, first 2 shown]
	v_mov_b32_e32 v1, s9
	s_mov_b32 s11, 0x3fe2cf23
	s_mov_b32 s9, 0xbfe2cf23
	v_add_co_u32_e32 v0, vcc, s8, v0
	s_mov_b32 s8, s10
	s_mov_b32 s16, 0x372fe950
	;; [unrolled: 1-line block ×3, first 2 shown]
	v_addc_co_u32_e32 v1, vcc, 0, v1, vcc
	v_mul_i32_i24_e32 v3, 0xffffffd0, v226
	v_mul_hi_i32_i24_e32 v2, 0xffffffd0, v226
	v_add_co_u32_e32 v0, vcc, v0, v3
	v_addc_co_u32_e32 v1, vcc, v1, v2, vcc
	s_waitcnt vmcnt(0) lgkmcnt(0)
	s_barrier
	v_mul_f64 v[140:141], v[94:95], v[58:59]
	v_mul_f64 v[142:143], v[92:93], v[58:59]
	;; [unrolled: 1-line block ×13, first 2 shown]
	v_fma_f64 v[92:93], v[92:93], v[56:57], -v[140:141]
	v_fma_f64 v[94:95], v[94:95], v[56:57], v[142:143]
	v_fma_f64 v[100:101], v[100:101], v[52:53], -v[144:145]
	v_fma_f64 v[102:103], v[102:103], v[52:53], v[146:147]
	;; [unrolled: 2-line block ×4, first 2 shown]
	v_mul_f64 v[162:163], v[120:121], v[54:55]
	v_mul_f64 v[167:168], v[128:129], v[50:51]
	;; [unrolled: 1-line block ×3, first 2 shown]
	v_fma_f64 v[140:141], v[96:97], v[56:57], -v[156:157]
	v_fma_f64 v[142:143], v[98:99], v[56:57], v[158:159]
	v_fma_f64 v[144:145], v[120:121], v[52:53], -v[160:161]
	v_fma_f64 v[128:129], v[128:129], v[48:49], -v[165:166]
	;; [unrolled: 1-line block ×3, first 2 shown]
	v_add_f64 v[96:97], v[84:85], v[92:93]
	v_add_f64 v[148:149], v[92:93], -v[100:101]
	v_add_f64 v[150:151], v[132:133], -v[124:125]
	v_add_f64 v[158:159], v[86:87], v[94:95]
	v_add_f64 v[160:161], v[102:103], v[126:127]
	;; [unrolled: 1-line block ×5, first 2 shown]
	v_fma_f64 v[146:147], v[122:123], v[52:53], v[162:163]
	v_fma_f64 v[130:131], v[130:131], v[48:49], v[167:168]
	;; [unrolled: 1-line block ×3, first 2 shown]
	v_add_f64 v[120:121], v[94:95], -v[134:135]
	v_add_f64 v[122:123], v[102:103], -v[126:127]
	;; [unrolled: 1-line block ×10, first 2 shown]
	v_add_f64 v[173:174], v[88:89], v[140:141]
	v_add_f64 v[175:176], v[144:145], v[128:129]
	;; [unrolled: 1-line block ×5, first 2 shown]
	v_fma_f64 v[150:151], v[160:161], -0.5, v[86:87]
	v_fma_f64 v[86:87], v[169:170], -0.5, v[86:87]
	;; [unrolled: 1-line block ×4, first 2 shown]
	v_add_f64 v[177:178], v[142:143], -v[138:139]
	v_add_f64 v[148:149], v[154:155], v[156:157]
	v_add_f64 v[152:153], v[165:166], v[167:168]
	;; [unrolled: 1-line block ×4, first 2 shown]
	v_fma_f64 v[156:157], v[175:176], -0.5, v[88:89]
	v_add_f64 v[102:103], v[102:103], v[126:127]
	v_fma_f64 v[126:127], v[92:93], s[20:21], v[150:151]
	v_fma_f64 v[167:168], v[162:163], s[18:19], v[86:87]
	v_add_f64 v[96:97], v[96:97], v[124:125]
	v_fma_f64 v[124:125], v[120:121], s[18:19], v[98:99]
	v_fma_f64 v[98:99], v[120:121], s[20:21], v[98:99]
	;; [unrolled: 1-line block ×6, first 2 shown]
	v_add_f64 v[179:180], v[146:147], -v[130:131]
	v_add_f64 v[171:172], v[94:95], v[128:129]
	v_fma_f64 v[94:95], v[177:178], s[18:19], v[156:157]
	v_add_f64 v[86:87], v[102:103], v[134:135]
	v_fma_f64 v[102:103], v[162:163], s[8:9], v[126:127]
	v_fma_f64 v[126:127], v[92:93], s[8:9], v[167:168]
	v_add_f64 v[84:85], v[96:97], v[132:133]
	v_fma_f64 v[96:97], v[122:123], s[10:11], v[124:125]
	v_fma_f64 v[98:99], v[122:123], s[8:9], v[98:99]
	;; [unrolled: 1-line block ×3, first 2 shown]
	v_add_f64 v[181:182], v[140:141], -v[144:145]
	v_add_f64 v[183:184], v[136:137], -v[128:129]
	v_add_f64 v[185:186], v[140:141], v[136:137]
	v_fma_f64 v[122:123], v[120:121], s[10:11], v[160:161]
	v_fma_f64 v[120:121], v[120:121], s[8:9], v[165:166]
	;; [unrolled: 1-line block ×6, first 2 shown]
	v_add_f64 v[126:127], v[146:147], v[130:131]
	v_fma_f64 v[92:93], v[100:101], s[16:17], v[96:97]
	v_fma_f64 v[96:97], v[100:101], s[16:17], v[98:99]
	;; [unrolled: 1-line block ×3, first 2 shown]
	v_add_f64 v[152:153], v[142:143], v[138:139]
	v_add_f64 v[158:159], v[181:182], v[183:184]
	v_fma_f64 v[100:101], v[148:149], s[16:17], v[122:123]
	v_fma_f64 v[120:121], v[148:149], s[16:17], v[120:121]
	v_fma_f64 v[148:149], v[185:186], -0.5, v[88:89]
	v_fma_f64 v[122:123], v[154:155], s[16:17], v[132:133]
	v_fma_f64 v[132:133], v[177:178], s[20:21], v[156:157]
	v_add_f64 v[156:157], v[90:91], v[142:143]
	v_add_f64 v[88:89], v[171:172], v[136:137]
	v_add_f64 v[150:151], v[144:145], -v[140:141]
	v_add_f64 v[154:155], v[128:129], -v[136:137]
	v_fma_f64 v[126:127], v[126:127], -0.5, v[90:91]
	v_add_f64 v[136:137], v[140:141], -v[136:137]
	v_add_f64 v[128:129], v[144:145], -v[128:129]
	v_fma_f64 v[90:91], v[152:153], -0.5, v[90:91]
	v_fma_f64 v[124:125], v[158:159], s[16:17], v[134:135]
	v_fma_f64 v[134:135], v[179:180], s[20:21], v[148:149]
	;; [unrolled: 1-line block ×3, first 2 shown]
	v_add_f64 v[148:149], v[156:157], v[146:147]
	v_add_f64 v[140:141], v[150:151], v[154:155]
	v_fma_f64 v[150:151], v[136:137], s[20:21], v[126:127]
	v_add_f64 v[152:153], v[142:143], -v[146:147]
	v_add_f64 v[154:155], v[138:139], -v[130:131]
	v_fma_f64 v[156:157], v[128:129], s[18:19], v[90:91]
	v_add_f64 v[142:143], v[146:147], -v[142:143]
	v_add_f64 v[146:147], v[130:131], -v[138:139]
	v_fma_f64 v[126:127], v[136:137], s[18:19], v[126:127]
	v_fma_f64 v[90:91], v[128:129], s[20:21], v[90:91]
	v_add_f64 v[130:131], v[148:149], v[130:131]
	v_fma_f64 v[148:149], v[128:129], s[8:9], v[150:151]
	v_add_f64 v[150:151], v[152:153], v[154:155]
	v_fma_f64 v[132:133], v[179:180], s[8:9], v[132:133]
	v_fma_f64 v[134:135], v[177:178], s[10:11], v[134:135]
	v_fma_f64 v[154:155], v[136:137], s[8:9], v[156:157]
	v_add_f64 v[142:143], v[142:143], v[146:147]
	v_fma_f64 v[144:145], v[177:178], s[8:9], v[144:145]
	v_fma_f64 v[152:153], v[128:129], s[10:11], v[126:127]
	;; [unrolled: 4-line block ×3, first 2 shown]
	v_fma_f64 v[132:133], v[140:141], s[16:17], v[134:135]
	v_fma_f64 v[134:135], v[142:143], s[16:17], v[154:155]
	s_movk_i32 s8, 0x2000
	v_fma_f64 v[136:137], v[140:141], s[16:17], v[144:145]
	v_fma_f64 v[130:131], v[150:151], s[16:17], v[152:153]
	v_fma_f64 v[138:139], v[142:143], s[16:17], v[146:147]
	ds_write_b128 v227, v[84:87]
	ds_write_b128 v227, v[92:95] offset:2464
	ds_write_b128 v227, v[100:103] offset:4928
	;; [unrolled: 1-line block ×9, first 2 shown]
	v_add_co_u32_e32 v84, vcc, s8, v0
	v_addc_co_u32_e32 v85, vcc, 0, v1, vcc
	s_movk_i32 s8, 0x3000
	v_add_co_u32_e32 v88, vcc, s8, v0
	v_addc_co_u32_e32 v89, vcc, 0, v1, vcc
	s_waitcnt lgkmcnt(0)
	s_barrier
	global_load_dwordx4 v[84:87], v[84:85], off offset:3952
	s_movk_i32 s8, 0x4000
	global_load_dwordx4 v[88:91], v[88:89], off offset:2320
	v_add_co_u32_e32 v96, vcc, s8, v0
	v_addc_co_u32_e32 v97, vcc, 0, v1, vcc
	s_movk_i32 s8, 0x5000
	v_add_co_u32_e32 v100, vcc, s8, v0
	v_addc_co_u32_e32 v101, vcc, 0, v1, vcc
	global_load_dwordx4 v[92:95], v[96:97], off offset:688
	s_nop 0
	global_load_dwordx4 v[96:99], v[96:97], off offset:3152
	s_nop 0
	global_load_dwordx4 v[100:103], v[100:101], off offset:1520
	ds_read_b128 v[120:123], v227 offset:12320
	ds_read_b128 v[128:131], v227
	ds_read_b128 v[140:143], v227 offset:2464
	ds_read_b128 v[124:127], v227 offset:14784
	;; [unrolled: 1-line block ×8, first 2 shown]
	s_waitcnt vmcnt(4) lgkmcnt(9)
	v_mul_f64 v[160:161], v[122:123], v[86:87]
	v_mul_f64 v[162:163], v[120:121], v[86:87]
	s_waitcnt vmcnt(3) lgkmcnt(6)
	v_mul_f64 v[165:166], v[126:127], v[90:91]
	v_mul_f64 v[167:168], v[124:125], v[90:91]
	v_fma_f64 v[120:121], v[120:121], v[84:85], -v[160:161]
	v_fma_f64 v[122:123], v[122:123], v[84:85], v[162:163]
	v_fma_f64 v[160:161], v[124:125], v[88:89], -v[165:166]
	v_fma_f64 v[162:163], v[126:127], v[88:89], v[167:168]
	s_waitcnt vmcnt(2) lgkmcnt(5)
	v_mul_f64 v[165:166], v[134:135], v[94:95]
	v_mul_f64 v[167:168], v[132:133], v[94:95]
	s_waitcnt vmcnt(1) lgkmcnt(1)
	v_mul_f64 v[169:170], v[138:139], v[98:99]
	v_mul_f64 v[171:172], v[136:137], v[98:99]
	;; [unrolled: 3-line block ×3, first 2 shown]
	v_add_f64 v[124:125], v[128:129], -v[120:121]
	v_add_f64 v[126:127], v[130:131], -v[122:123]
	v_fma_f64 v[132:133], v[132:133], v[92:93], -v[165:166]
	v_fma_f64 v[134:135], v[134:135], v[92:93], v[167:168]
	v_fma_f64 v[136:137], v[136:137], v[96:97], -v[169:170]
	v_fma_f64 v[138:139], v[138:139], v[96:97], v[171:172]
	;; [unrolled: 2-line block ×3, first 2 shown]
	v_fma_f64 v[120:121], v[128:129], 2.0, -v[124:125]
	v_fma_f64 v[122:123], v[130:131], 2.0, -v[126:127]
	v_add_f64 v[128:129], v[140:141], -v[160:161]
	v_add_f64 v[130:131], v[142:143], -v[162:163]
	;; [unrolled: 1-line block ×8, first 2 shown]
	v_fma_f64 v[140:141], v[140:141], 2.0, -v[128:129]
	v_fma_f64 v[142:143], v[142:143], 2.0, -v[130:131]
	;; [unrolled: 1-line block ×8, first 2 shown]
	ds_write_b128 v227, v[120:123]
	ds_write_b128 v227, v[124:127] offset:12320
	ds_write_b128 v227, v[140:143] offset:2464
	;; [unrolled: 1-line block ×9, first 2 shown]
	s_waitcnt lgkmcnt(0)
	s_barrier
	s_and_saveexec_b64 s[8:9], s[0:1]
	s_cbranch_execz .LBB0_13
; %bb.12:
	v_add_co_u32_e32 v161, vcc, s14, v225
	v_mov_b32_e32 v0, s15
	v_addc_co_u32_e32 v160, vcc, 0, v0, vcc
	v_add_co_u32_e32 v162, vcc, 0x6040, v161
	v_addc_co_u32_e32 v163, vcc, 0, v160, vcc
	v_add_co_u32_e32 v169, vcc, 0x6000, v161
	v_addc_co_u32_e32 v170, vcc, 0, v160, vcc
	global_load_dwordx4 v[169:172], v[169:170], off offset:64
	ds_read_b128 v[165:168], v227
	s_movk_i32 s10, 0x7000
	s_waitcnt vmcnt(0) lgkmcnt(0)
	v_mul_f64 v[173:174], v[167:168], v[171:172]
	v_fma_f64 v[173:174], v[165:166], v[169:170], -v[173:174]
	v_mul_f64 v[165:166], v[165:166], v[171:172]
	v_fma_f64 v[175:176], v[167:168], v[169:170], v[165:166]
	global_load_dwordx4 v[169:172], v[162:163], off offset:2240
	ds_write_b128 v227, v[173:176]
	ds_read_b128 v[165:168], v225 offset:2240
	s_waitcnt vmcnt(0) lgkmcnt(0)
	v_mul_f64 v[162:163], v[167:168], v[171:172]
	v_fma_f64 v[173:174], v[165:166], v[169:170], -v[162:163]
	v_mul_f64 v[162:163], v[165:166], v[171:172]
	v_fma_f64 v[175:176], v[167:168], v[169:170], v[162:163]
	v_add_co_u32_e32 v162, vcc, s10, v161
	v_addc_co_u32_e32 v163, vcc, 0, v160, vcc
	global_load_dwordx4 v[169:172], v[162:163], off offset:448
	ds_read_b128 v[165:168], v225 offset:4480
	s_mov_b32 s10, 0x8000
	ds_write_b128 v225, v[173:176] offset:2240
	s_waitcnt vmcnt(0) lgkmcnt(1)
	v_mul_f64 v[173:174], v[167:168], v[171:172]
	v_fma_f64 v[173:174], v[165:166], v[169:170], -v[173:174]
	v_mul_f64 v[165:166], v[165:166], v[171:172]
	v_fma_f64 v[175:176], v[167:168], v[169:170], v[165:166]
	global_load_dwordx4 v[169:172], v[162:163], off offset:2688
	ds_read_b128 v[165:168], v225 offset:6720
	ds_write_b128 v225, v[173:176] offset:4480
	s_waitcnt vmcnt(0) lgkmcnt(1)
	v_mul_f64 v[162:163], v[167:168], v[171:172]
	v_fma_f64 v[173:174], v[165:166], v[169:170], -v[162:163]
	v_mul_f64 v[162:163], v[165:166], v[171:172]
	v_fma_f64 v[175:176], v[167:168], v[169:170], v[162:163]
	v_add_co_u32_e32 v162, vcc, s10, v161
	v_addc_co_u32_e32 v163, vcc, 0, v160, vcc
	global_load_dwordx4 v[169:172], v[162:163], off offset:832
	ds_read_b128 v[165:168], v225 offset:8960
	s_mov_b32 s10, 0x9000
	ds_write_b128 v225, v[173:176] offset:6720
	s_waitcnt vmcnt(0) lgkmcnt(1)
	v_mul_f64 v[173:174], v[167:168], v[171:172]
	v_fma_f64 v[173:174], v[165:166], v[169:170], -v[173:174]
	v_mul_f64 v[165:166], v[165:166], v[171:172]
	v_fma_f64 v[175:176], v[167:168], v[169:170], v[165:166]
	global_load_dwordx4 v[169:172], v[162:163], off offset:3072
	ds_read_b128 v[165:168], v225 offset:11200
	ds_write_b128 v225, v[173:176] offset:8960
	;; [unrolled: 19-line block ×3, first 2 shown]
	s_waitcnt vmcnt(0) lgkmcnt(1)
	v_mul_f64 v[162:163], v[167:168], v[171:172]
	v_fma_f64 v[173:174], v[165:166], v[169:170], -v[162:163]
	v_mul_f64 v[162:163], v[165:166], v[171:172]
	v_fma_f64 v[175:176], v[167:168], v[169:170], v[162:163]
	v_add_co_u32_e32 v162, vcc, s10, v161
	v_addc_co_u32_e32 v163, vcc, 0, v160, vcc
	global_load_dwordx4 v[169:172], v[162:163], off offset:1600
	ds_read_b128 v[165:168], v225 offset:17920
	s_mov_b32 s10, 0xb000
	ds_write_b128 v225, v[173:176] offset:15680
	v_add_co_u32_e32 v161, vcc, s10, v161
	s_waitcnt vmcnt(0) lgkmcnt(1)
	v_mul_f64 v[173:174], v[167:168], v[171:172]
	v_fma_f64 v[173:174], v[165:166], v[169:170], -v[173:174]
	v_mul_f64 v[165:166], v[165:166], v[171:172]
	v_fma_f64 v[175:176], v[167:168], v[169:170], v[165:166]
	global_load_dwordx4 v[169:172], v[162:163], off offset:3840
	ds_read_b128 v[165:168], v225 offset:20160
	ds_write_b128 v225, v[173:176] offset:17920
	s_waitcnt vmcnt(0) lgkmcnt(1)
	v_mul_f64 v[162:163], v[167:168], v[171:172]
	v_fma_f64 v[173:174], v[165:166], v[169:170], -v[162:163]
	v_mul_f64 v[162:163], v[165:166], v[171:172]
	v_fma_f64 v[175:176], v[167:168], v[169:170], v[162:163]
	v_addc_co_u32_e32 v162, vcc, 0, v160, vcc
	global_load_dwordx4 v[160:163], v[161:162], off offset:1984
	ds_read_b128 v[165:168], v225 offset:22400
	ds_write_b128 v225, v[173:176] offset:20160
	s_waitcnt vmcnt(0) lgkmcnt(1)
	v_mul_f64 v[169:170], v[167:168], v[162:163]
	v_mul_f64 v[162:163], v[165:166], v[162:163]
	v_fma_f64 v[169:170], v[165:166], v[160:161], -v[169:170]
	v_fma_f64 v[171:172], v[167:168], v[160:161], v[162:163]
	ds_write_b128 v225, v[169:172] offset:22400
.LBB0_13:
	s_or_b64 exec, exec, s[8:9]
	s_waitcnt lgkmcnt(0)
	s_barrier
	s_and_saveexec_b64 s[8:9], s[0:1]
	s_cbranch_execz .LBB0_15
; %bb.14:
	ds_read_b128 v[120:123], v227
	ds_read_b128 v[124:127], v227 offset:2240
	ds_read_b128 v[140:143], v227 offset:4480
	;; [unrolled: 1-line block ×10, first 2 shown]
.LBB0_15:
	s_or_b64 exec, exec, s[8:9]
	s_waitcnt lgkmcnt(0)
	v_add_f64 v[209:210], v[126:127], -v[118:119]
	v_add_f64 v[205:206], v[126:127], v[118:119]
	s_mov_b32 s8, 0x8764f0ba
	s_mov_b32 s30, 0xf8bb580b
	;; [unrolled: 1-line block ×4, first 2 shown]
	v_add_f64 v[165:166], v[124:125], v[116:117]
	v_add_f64 v[215:216], v[124:125], -v[116:117]
	v_mul_f64 v[167:168], v[209:210], s[30:31]
	v_mul_f64 v[169:170], v[205:206], s[8:9]
	v_add_f64 v[183:184], v[142:143], -v[154:155]
	v_add_f64 v[181:182], v[142:143], v[154:155]
	s_mov_b32 s26, 0x8eee2c13
	s_mov_b32 s18, 0xd9c712b6
	s_mov_b32 s27, 0xbfed1bb4
	s_mov_b32 s19, 0x3fda9628
	v_add_f64 v[171:172], v[140:141], v[152:153]
	v_add_f64 v[217:218], v[140:141], -v[152:153]
	v_fma_f64 v[160:161], v[165:166], s[8:9], -v[167:168]
	v_fma_f64 v[162:163], v[215:216], s[30:31], v[169:170]
	v_mul_f64 v[173:174], v[183:184], s[26:27]
	v_mul_f64 v[175:176], v[181:182], s[18:19]
	v_add_f64 v[197:198], v[130:131], -v[158:159]
	v_add_f64 v[193:194], v[130:131], v[158:159]
	s_mov_b32 s16, 0x640f44db
	s_mov_b32 s36, 0x43842ef
	;; [unrolled: 1-line block ×4, first 2 shown]
	v_fma_f64 v[187:188], v[171:172], s[18:19], -v[173:174]
	v_add_f64 v[160:161], v[120:121], v[160:161]
	v_add_f64 v[162:163], v[122:123], v[162:163]
	v_fma_f64 v[189:190], v[217:218], s[26:27], v[175:176]
	v_add_f64 v[177:178], v[128:129], v[156:157]
	v_add_f64 v[219:220], v[128:129], -v[156:157]
	v_mul_f64 v[179:180], v[197:198], s[36:37]
	v_mul_f64 v[185:186], v[193:194], s[16:17]
	v_add_f64 v[207:208], v[146:147], -v[138:139]
	v_add_f64 v[203:204], v[146:147], v[138:139]
	s_mov_b32 s20, 0x7f775887
	s_mov_b32 s24, 0xbb3a28a1
	;; [unrolled: 1-line block ×4, first 2 shown]
	v_add_f64 v[160:161], v[187:188], v[160:161]
	v_add_f64 v[162:163], v[189:190], v[162:163]
	v_fma_f64 v[191:192], v[177:178], s[16:17], -v[179:180]
	v_fma_f64 v[199:200], v[219:220], s[36:37], v[185:186]
	v_add_f64 v[187:188], v[144:145], v[136:137]
	v_add_f64 v[221:222], v[144:145], -v[136:137]
	v_mul_f64 v[189:190], v[207:208], s[24:25]
	v_mul_f64 v[195:196], v[203:204], s[20:21]
	v_add_f64 v[213:214], v[134:135], -v[150:151]
	v_add_f64 v[211:212], v[134:135], v[150:151]
	s_mov_b32 s22, 0x9bcd5057
	s_mov_b32 s23, 0xbfeeb42a
	;; [unrolled: 1-line block ×4, first 2 shown]
	v_add_f64 v[160:161], v[191:192], v[160:161]
	v_add_f64 v[162:163], v[199:200], v[162:163]
	v_fma_f64 v[228:229], v[187:188], s[20:21], -v[189:190]
	v_fma_f64 v[230:231], v[221:222], s[24:25], v[195:196]
	v_add_f64 v[191:192], v[132:133], v[148:149]
	v_add_f64 v[223:224], v[132:133], -v[148:149]
	v_mul_f64 v[199:200], v[213:214], s[28:29]
	v_mul_f64 v[201:202], v[211:212], s[22:23]
	s_barrier
	v_add_f64 v[160:161], v[228:229], v[160:161]
	v_add_f64 v[162:163], v[230:231], v[162:163]
	v_fma_f64 v[228:229], v[191:192], s[22:23], -v[199:200]
	v_fma_f64 v[230:231], v[223:224], s[28:29], v[201:202]
	v_add_f64 v[160:161], v[228:229], v[160:161]
	v_add_f64 v[162:163], v[230:231], v[162:163]
	s_and_saveexec_b64 s[10:11], s[0:1]
	s_cbranch_execz .LBB0_17
; %bb.16:
	v_mul_f64 v[0:1], v[165:166], s[8:9]
	v_mul_f64 v[228:229], v[215:216], s[28:29]
	s_mov_b32 s35, 0x3fe14ced
	s_mov_b32 s34, s30
	v_mul_f64 v[230:231], v[217:218], s[34:35]
	v_mov_b32_e32 v16, v241
	v_mov_b32_e32 v17, v242
	;; [unrolled: 1-line block ×3, first 2 shown]
	buffer_store_dword v0, off, s[44:47], 0 offset:124 ; 4-byte Folded Spill
	s_nop 0
	buffer_store_dword v1, off, s[44:47], 0 offset:128 ; 4-byte Folded Spill
	v_mul_f64 v[0:1], v[215:216], s[30:31]
	v_mov_b32_e32 v19, v244
	v_mul_f64 v[241:242], v[219:220], s[24:25]
	v_fma_f64 v[243:244], v[181:182], s[8:9], v[230:231]
	s_mov_b32 s41, 0x3fed1bb4
	s_mov_b32 s40, s26
	v_mov_b32_e32 v8, v232
	v_mov_b32_e32 v164, v233
	buffer_store_dword v0, off, s[44:47], 0 offset:140 ; 4-byte Folded Spill
	s_nop 0
	buffer_store_dword v1, off, s[44:47], 0 offset:144 ; 4-byte Folded Spill
	v_mul_f64 v[0:1], v[171:172], s[18:19]
	v_fma_f64 v[104:105], v[193:194], s[20:21], v[241:242]
	v_mul_f64 v[232:233], v[223:224], s[36:37]
	v_fma_f64 v[230:231], v[181:182], s[8:9], -v[230:231]
	s_mov_b32 s39, 0x3fefac9e
	s_mov_b32 s38, s36
	v_mul_f64 v[106:107], v[223:224], s[28:29]
	v_add_f64 v[126:127], v[122:123], v[126:127]
	buffer_store_dword v0, off, s[44:47], 0 offset:116 ; 4-byte Folded Spill
	s_nop 0
	buffer_store_dword v1, off, s[44:47], 0 offset:120 ; 4-byte Folded Spill
	v_mul_f64 v[0:1], v[217:218], s[26:27]
	v_add_f64 v[124:125], v[120:121], v[124:125]
	buffer_store_dword v0, off, s[44:47], 0 offset:132 ; 4-byte Folded Spill
	s_nop 0
	buffer_store_dword v1, off, s[44:47], 0 offset:136 ; 4-byte Folded Spill
	v_mul_f64 v[0:1], v[177:178], s[16:17]
	buffer_store_dword v237, off, s[44:47], 0 offset:40 ; 4-byte Folded Spill
	s_nop 0
	buffer_store_dword v238, off, s[44:47], 0 offset:44 ; 4-byte Folded Spill
	buffer_store_dword v239, off, s[44:47], 0 offset:48 ; 4-byte Folded Spill
	;; [unrolled: 1-line block ×3, first 2 shown]
	v_fma_f64 v[237:238], v[205:206], s[22:23], v[228:229]
	v_mul_f64 v[239:240], v[209:210], s[28:29]
	v_fma_f64 v[228:229], v[205:206], s[22:23], -v[228:229]
	v_add_f64 v[126:127], v[126:127], v[142:143]
	v_add_f64 v[124:125], v[124:125], v[140:141]
	v_add_f64 v[106:107], v[201:202], -v[106:107]
	buffer_store_dword v0, off, s[44:47], 0 offset:108 ; 4-byte Folded Spill
	s_nop 0
	buffer_store_dword v1, off, s[44:47], 0 offset:112 ; 4-byte Folded Spill
	v_mul_f64 v[0:1], v[187:188], s[20:21]
	buffer_store_dword v12, off, s[44:47], 0 offset:92 ; 4-byte Folded Spill
	s_nop 0
	buffer_store_dword v13, off, s[44:47], 0 offset:96 ; 4-byte Folded Spill
	buffer_store_dword v14, off, s[44:47], 0 offset:100 ; 4-byte Folded Spill
	;; [unrolled: 1-line block ×3, first 2 shown]
	v_add_f64 v[237:238], v[122:123], v[237:238]
	v_mov_b32_e32 v9, v249
	v_mov_b32_e32 v10, v250
	;; [unrolled: 1-line block ×4, first 2 shown]
	v_mul_f64 v[249:250], v[197:198], s[24:25]
	buffer_store_dword v0, off, s[44:47], 0 offset:148 ; 4-byte Folded Spill
	s_nop 0
	buffer_store_dword v1, off, s[44:47], 0 offset:152 ; 4-byte Folded Spill
	v_mul_f64 v[0:1], v[221:222], s[24:25]
	v_mul_f64 v[251:252], v[221:222], s[40:41]
	v_add_f64 v[237:238], v[243:244], v[237:238]
	v_mov_b32_e32 v13, v234
	v_mul_f64 v[234:235], v[207:208], s[40:41]
	v_add_f64 v[228:229], v[122:123], v[228:229]
	v_mul_f64 v[14:15], v[219:220], s[36:37]
	v_add_f64 v[124:125], v[124:125], v[128:129]
	buffer_store_dword v0, off, s[44:47], 0 offset:156 ; 4-byte Folded Spill
	s_nop 0
	buffer_store_dword v1, off, s[44:47], 0 offset:160 ; 4-byte Folded Spill
	buffer_store_dword v23, off, s[44:47], 0 offset:56 ; 4-byte Folded Spill
	v_mov_b32_e32 v20, v245
	v_mov_b32_e32 v21, v246
	;; [unrolled: 1-line block ×4, first 2 shown]
	v_mul_f64 v[245:246], v[183:184], s[34:35]
	v_fma_f64 v[247:248], v[165:166], s[22:23], -v[239:240]
	v_mul_f64 v[0:1], v[191:192], s[22:23]
	buffer_store_dword v0, off, s[44:47], 0 offset:164 ; 4-byte Folded Spill
	s_nop 0
	buffer_store_dword v1, off, s[44:47], 0 offset:168 ; 4-byte Folded Spill
	v_fma_f64 v[243:244], v[171:172], s[8:9], -v[245:246]
	v_add_f64 v[247:248], v[120:121], v[247:248]
	buffer_store_dword v108, off, s[44:47], 0 offset:60 ; 4-byte Folded Spill
	s_nop 0
	buffer_store_dword v109, off, s[44:47], 0 offset:64 ; 4-byte Folded Spill
	buffer_store_dword v110, off, s[44:47], 0 offset:68 ; 4-byte Folded Spill
	;; [unrolled: 1-line block ×3, first 2 shown]
	v_fma_f64 v[108:109], v[203:204], s[18:19], v[251:252]
	v_add_f64 v[104:105], v[104:105], v[237:238]
	v_fma_f64 v[110:111], v[177:178], s[20:21], -v[249:250]
	v_fma_f64 v[239:240], v[165:166], s[22:23], v[239:240]
	v_add_f64 v[228:229], v[230:231], v[228:229]
	v_mul_f64 v[230:231], v[215:216], s[24:25]
	v_add_f64 v[237:238], v[243:244], v[247:248]
	v_fma_f64 v[247:248], v[211:212], s[16:17], v[232:233]
	v_mul_f64 v[243:244], v[213:214], s[36:37]
	v_add_f64 v[104:105], v[108:109], v[104:105]
	v_fma_f64 v[108:109], v[187:188], s[18:19], -v[234:235]
	v_fma_f64 v[232:233], v[211:212], s[16:17], -v[232:233]
	v_fma_f64 v[234:235], v[187:188], s[18:19], v[234:235]
	buffer_store_dword v112, off, s[44:47], 0 offset:76 ; 4-byte Folded Spill
	s_nop 0
	buffer_store_dword v113, off, s[44:47], 0 offset:80 ; 4-byte Folded Spill
	buffer_store_dword v114, off, s[44:47], 0 offset:84 ; 4-byte Folded Spill
	;; [unrolled: 1-line block ×3, first 2 shown]
	v_add_f64 v[110:111], v[110:111], v[237:238]
	v_fma_f64 v[237:238], v[193:194], s[20:21], -v[241:242]
	v_fma_f64 v[241:242], v[171:172], s[8:9], v[245:246]
	v_add_f64 v[245:246], v[120:121], v[239:240]
	v_add_f64 v[239:240], v[247:248], v[104:105]
	v_fma_f64 v[247:248], v[177:178], s[20:21], v[249:250]
	v_fma_f64 v[104:105], v[191:192], s[16:17], -v[243:244]
	v_fma_f64 v[249:250], v[205:206], s[20:21], v[230:231]
	v_add_f64 v[108:109], v[108:109], v[110:111]
	v_fma_f64 v[110:111], v[203:204], s[18:19], -v[251:252]
	v_add_f64 v[228:229], v[237:238], v[228:229]
	v_add_f64 v[241:242], v[241:242], v[245:246]
	v_mul_f64 v[245:246], v[217:218], s[38:39]
	v_fma_f64 v[230:231], v[205:206], s[20:21], -v[230:231]
	v_mul_f64 v[114:115], v[223:224], s[40:41]
	v_mul_f64 v[0:1], v[207:208], s[28:29]
	v_add_f64 v[237:238], v[104:105], v[108:109]
	v_mul_f64 v[104:105], v[219:220], s[30:31]
	v_add_f64 v[110:111], v[110:111], v[228:229]
	v_add_f64 v[241:242], v[247:248], v[241:242]
	v_mul_f64 v[228:229], v[209:210], s[24:25]
	v_fma_f64 v[108:109], v[181:182], s[16:17], v[245:246]
	v_add_f64 v[247:248], v[122:123], v[249:250]
	v_fma_f64 v[249:250], v[191:192], s[16:17], v[243:244]
	v_fma_f64 v[245:246], v[181:182], s[16:17], -v[245:246]
	v_fma_f64 v[251:252], v[193:194], s[8:9], v[104:105]
	v_add_f64 v[243:244], v[232:233], v[110:111]
	v_add_f64 v[234:235], v[234:235], v[241:242]
	v_mul_f64 v[232:233], v[183:184], s[38:39]
	v_fma_f64 v[112:113], v[165:166], s[20:21], -v[228:229]
	v_mul_f64 v[110:111], v[221:222], s[28:29]
	v_add_f64 v[108:109], v[108:109], v[247:248]
	v_fma_f64 v[228:229], v[165:166], s[20:21], v[228:229]
	v_add_f64 v[230:231], v[122:123], v[230:231]
	v_fma_f64 v[104:105], v[193:194], s[8:9], -v[104:105]
	v_add_f64 v[241:242], v[249:250], v[234:235]
	v_mul_f64 v[234:235], v[197:198], s[30:31]
	v_fma_f64 v[249:250], v[171:172], s[16:17], -v[232:233]
	v_add_f64 v[112:113], v[120:121], v[112:113]
	v_fma_f64 v[247:248], v[203:204], s[22:23], v[110:111]
	v_add_f64 v[108:109], v[251:252], v[108:109]
	v_fma_f64 v[6:7], v[171:172], s[16:17], v[232:233]
	v_add_f64 v[228:229], v[120:121], v[228:229]
	v_add_f64 v[230:231], v[245:246], v[230:231]
	v_fma_f64 v[2:3], v[177:178], s[8:9], -v[234:235]
	v_fma_f64 v[251:252], v[211:212], s[18:19], v[114:115]
	v_add_f64 v[112:113], v[249:250], v[112:113]
	v_mul_f64 v[249:250], v[213:214], s[40:41]
	v_add_f64 v[108:109], v[247:248], v[108:109]
	v_fma_f64 v[4:5], v[187:188], s[22:23], -v[0:1]
	v_fma_f64 v[232:233], v[177:178], s[8:9], v[234:235]
	v_add_f64 v[6:7], v[6:7], v[228:229]
	v_fma_f64 v[110:111], v[203:204], s[22:23], -v[110:111]
	v_add_f64 v[104:105], v[104:105], v[230:231]
	v_add_f64 v[2:3], v[2:3], v[112:113]
	v_mul_f64 v[112:113], v[215:216], s[36:37]
	s_mov_b32 s29, 0x3fd207e7
	v_add_f64 v[247:248], v[251:252], v[108:109]
	v_fma_f64 v[108:109], v[191:192], s[18:19], -v[249:250]
	v_fma_f64 v[0:1], v[187:188], s[22:23], v[0:1]
	v_add_f64 v[6:7], v[232:233], v[6:7]
	v_fma_f64 v[114:115], v[211:212], s[18:19], -v[114:115]
	v_add_f64 v[2:3], v[4:5], v[2:3]
	v_mul_f64 v[4:5], v[217:218], s[28:29]
	v_fma_f64 v[228:229], v[205:206], s[16:17], v[112:113]
	v_add_f64 v[104:105], v[110:111], v[104:105]
	v_fma_f64 v[112:113], v[205:206], s[16:17], -v[112:113]
	v_mul_f64 v[232:233], v[197:198], s[40:41]
	v_add_f64 v[0:1], v[0:1], v[6:7]
	v_mul_f64 v[6:7], v[221:222], s[30:31]
	v_add_f64 v[245:246], v[108:109], v[2:3]
	v_mul_f64 v[2:3], v[219:220], s[40:41]
	v_fma_f64 v[108:109], v[181:182], s[22:23], v[4:5]
	v_add_f64 v[110:111], v[122:123], v[228:229]
	v_fma_f64 v[228:229], v[191:192], s[18:19], v[249:250]
	v_add_f64 v[251:252], v[114:115], v[104:105]
	v_mul_f64 v[104:105], v[209:210], s[36:37]
	v_fma_f64 v[4:5], v[181:182], s[22:23], -v[4:5]
	v_add_f64 v[112:113], v[122:123], v[112:113]
	v_fma_f64 v[114:115], v[193:194], s[18:19], v[2:3]
	v_fma_f64 v[2:3], v[193:194], s[18:19], -v[2:3]
	v_add_f64 v[108:109], v[108:109], v[110:111]
	v_add_f64 v[249:250], v[228:229], v[0:1]
	v_mul_f64 v[228:229], v[183:184], s[28:29]
	v_fma_f64 v[230:231], v[165:166], s[16:17], -v[104:105]
	v_mul_f64 v[110:111], v[223:224], s[24:25]
	v_fma_f64 v[0:1], v[203:204], s[8:9], v[6:7]
	v_fma_f64 v[104:105], v[165:166], s[16:17], v[104:105]
	v_add_f64 v[4:5], v[4:5], v[112:113]
	v_add_f64 v[108:109], v[114:115], v[108:109]
	v_fma_f64 v[6:7], v[203:204], s[8:9], -v[6:7]
	v_fma_f64 v[234:235], v[171:172], s[22:23], -v[228:229]
	v_add_f64 v[230:231], v[120:121], v[230:231]
	v_fma_f64 v[114:115], v[211:212], s[20:21], v[110:111]
	v_fma_f64 v[112:113], v[171:172], s[22:23], v[228:229]
	v_add_f64 v[104:105], v[120:121], v[104:105]
	v_fma_f64 v[228:229], v[177:178], s[18:19], -v[232:233]
	v_add_f64 v[0:1], v[0:1], v[108:109]
	v_mul_f64 v[108:109], v[207:208], s[30:31]
	v_add_f64 v[2:3], v[2:3], v[4:5]
	v_add_f64 v[234:235], v[234:235], v[230:231]
	v_fma_f64 v[110:111], v[211:212], s[20:21], -v[110:111]
	v_fma_f64 v[4:5], v[177:178], s[18:19], v[232:233]
	v_add_f64 v[104:105], v[112:113], v[104:105]
	v_mul_f64 v[209:210], v[209:210], s[26:27]
	v_add_f64 v[230:231], v[114:115], v[0:1]
	v_fma_f64 v[112:113], v[187:188], s[8:9], -v[108:109]
	v_add_f64 v[2:3], v[6:7], v[2:3]
	v_add_f64 v[114:115], v[228:229], v[234:235]
	v_mul_f64 v[6:7], v[215:216], s[26:27]
	v_mul_f64 v[183:184], v[183:184], s[24:25]
	v_add_f64 v[4:5], v[4:5], v[104:105]
	v_mul_f64 v[104:105], v[223:224], s[34:35]
	v_fma_f64 v[223:224], v[165:166], s[18:19], -v[209:210]
	v_mul_f64 v[140:141], v[197:198], s[28:29]
	v_add_f64 v[215:216], v[110:111], v[2:3]
	v_add_f64 v[112:113], v[112:113], v[114:115]
	v_mul_f64 v[114:115], v[217:218], s[24:25]
	v_fma_f64 v[2:3], v[205:206], s[18:19], v[6:7]
	v_fma_f64 v[6:7], v[205:206], s[18:19], -v[6:7]
	v_mul_f64 v[217:218], v[219:220], s[28:29]
	v_mul_f64 v[110:111], v[221:222], s[38:39]
	v_fma_f64 v[142:143], v[171:172], s[20:21], -v[183:184]
	v_fma_f64 v[128:129], v[177:178], s[22:23], -v[140:141]
	v_add_f64 v[124:125], v[124:125], v[144:145]
	v_fma_f64 v[219:220], v[181:182], s[20:21], v[114:115]
	v_fma_f64 v[114:115], v[181:182], s[20:21], -v[114:115]
	v_add_f64 v[6:7], v[122:123], v[6:7]
	v_fma_f64 v[205:206], v[193:194], s[22:23], v[217:218]
	v_add_f64 v[181:182], v[120:121], v[223:224]
	v_fma_f64 v[193:194], v[193:194], s[22:23], -v[217:218]
	v_fma_f64 v[221:222], v[203:204], s[16:17], v[110:111]
	v_fma_f64 v[110:111], v[203:204], s[16:17], -v[110:111]
	v_mov_b32_e32 v234, v13
	v_add_f64 v[2:3], v[122:123], v[2:3]
	v_add_f64 v[6:7], v[114:115], v[6:7]
	;; [unrolled: 1-line block ×4, first 2 shown]
	v_mul_f64 v[126:127], v[207:208], s[38:39]
	v_fma_f64 v[108:109], v[187:188], s[8:9], v[108:109]
	v_mul_f64 v[142:143], v[213:214], s[34:35]
	v_mul_f64 v[0:1], v[213:214], s[24:25]
	v_add_f64 v[2:3], v[219:220], v[2:3]
	v_add_f64 v[6:7], v[193:194], v[6:7]
	;; [unrolled: 1-line block ×4, first 2 shown]
	buffer_load_dword v130, off, s[44:47], 0 offset:140 ; 4-byte Folded Reload
	buffer_load_dword v131, off, s[44:47], 0 offset:144 ; 4-byte Folded Reload
	v_fma_f64 v[144:145], v[187:188], s[16:17], -v[126:127]
	v_fma_f64 v[126:127], v[187:188], s[16:17], v[126:127]
	v_add_f64 v[4:5], v[108:109], v[4:5]
	v_add_f64 v[2:3], v[205:206], v[2:3]
	;; [unrolled: 1-line block ×5, first 2 shown]
	buffer_load_dword v124, off, s[44:47], 0 offset:124 ; 4-byte Folded Reload
	buffer_load_dword v125, off, s[44:47], 0 offset:128 ; 4-byte Folded Reload
	v_fma_f64 v[132:133], v[165:166], s[18:19], v[209:210]
	buffer_load_dword v146, off, s[44:47], 0 offset:132 ; 4-byte Folded Reload
	buffer_load_dword v147, off, s[44:47], 0 offset:136 ; 4-byte Folded Reload
	v_fma_f64 v[134:135], v[171:172], s[20:21], v[183:184]
	v_fma_f64 v[108:109], v[211:212], s[8:9], v[104:105]
	v_fma_f64 v[104:105], v[211:212], s[8:9], -v[104:105]
	v_add_f64 v[110:111], v[110:111], v[150:151]
	v_add_f64 v[114:115], v[114:115], v[148:149]
	v_fma_f64 v[228:229], v[191:192], s[20:21], -v[0:1]
	v_fma_f64 v[0:1], v[191:192], s[20:21], v[0:1]
	v_add_f64 v[2:3], v[221:222], v[2:3]
	v_mov_b32_e32 v232, v8
	v_add_f64 v[110:111], v[110:111], v[138:139]
	v_add_f64 v[114:115], v[114:115], v[136:137]
	;; [unrolled: 1-line block ×4, first 2 shown]
	v_lshlrev_b32_e32 v0, 4, v164
	v_fma_f64 v[138:139], v[191:192], s[8:9], -v[142:143]
	v_add_f64 v[110:111], v[110:111], v[158:159]
	v_add_f64 v[114:115], v[114:115], v[156:157]
	;; [unrolled: 1-line block ×4, first 2 shown]
	s_waitcnt vmcnt(4)
	v_add_f64 v[130:131], v[169:170], -v[130:131]
	s_waitcnt vmcnt(2)
	v_add_f64 v[124:125], v[124:125], v[167:168]
	v_add_f64 v[122:123], v[122:123], v[130:131]
	buffer_load_dword v130, off, s[44:47], 0 offset:116 ; 4-byte Folded Reload
	buffer_load_dword v131, off, s[44:47], 0 offset:120 ; 4-byte Folded Reload
	s_waitcnt vmcnt(2)
	v_add_f64 v[146:147], v[175:176], -v[146:147]
	v_add_f64 v[124:125], v[120:121], v[124:125]
	v_add_f64 v[120:121], v[120:121], v[132:133]
	v_fma_f64 v[132:133], v[177:178], s[22:23], v[140:141]
	v_add_f64 v[140:141], v[185:186], -v[14:15]
	buffer_load_dword v13, off, s[44:47], 0 offset:108 ; 4-byte Folded Reload
	buffer_load_dword v14, off, s[44:47], 0 offset:112 ; 4-byte Folded Reload
	v_add_f64 v[122:123], v[146:147], v[122:123]
	v_add_f64 v[120:121], v[134:135], v[120:121]
	;; [unrolled: 1-line block ×6, first 2 shown]
	v_fma_f64 v[132:133], v[191:192], s[8:9], v[142:143]
	v_add_f64 v[136:137], v[126:127], v[120:121]
	v_add_f64 v[126:127], v[114:115], v[116:117]
	;; [unrolled: 1-line block ×5, first 2 shown]
	s_waitcnt vmcnt(2)
	v_add_f64 v[130:131], v[130:131], v[173:174]
	v_add_f64 v[124:125], v[130:131], v[124:125]
	s_waitcnt vmcnt(0)
	v_add_f64 v[146:147], v[13:14], v[179:180]
	buffer_load_dword v13, off, s[44:47], 0 offset:156 ; 4-byte Folded Reload
	buffer_load_dword v14, off, s[44:47], 0 offset:160 ; 4-byte Folded Reload
	v_add_f64 v[124:125], v[146:147], v[124:125]
	s_waitcnt vmcnt(0)
	v_add_f64 v[130:131], v[195:196], -v[13:14]
	buffer_load_dword v13, off, s[44:47], 0 offset:148 ; 4-byte Folded Reload
	buffer_load_dword v14, off, s[44:47], 0 offset:152 ; 4-byte Folded Reload
	v_add_f64 v[122:123], v[130:131], v[122:123]
	s_waitcnt vmcnt(0)
	v_add_f64 v[134:135], v[13:14], v[189:190]
	buffer_load_dword v13, off, s[44:47], 0 offset:164 ; 4-byte Folded Reload
	buffer_load_dword v14, off, s[44:47], 0 offset:168 ; 4-byte Folded Reload
	;; [unrolled: 1-line block ×10, first 2 shown]
	v_add_f64 v[134:135], v[134:135], v[124:125]
	v_add_f64 v[124:125], v[106:107], v[122:123]
	s_waitcnt vmcnt(8)
	v_add_f64 v[130:131], v[13:14], v[199:200]
	v_add_f64 v[122:123], v[130:131], v[134:135]
	ds_write_b128 v0, v[126:129]
	ds_write_b128 v0, v[122:125] offset:16
	ds_write_b128 v0, v[118:121] offset:32
	ds_write_b128 v0, v[213:216] offset:48
	ds_write_b128 v0, v[249:252] offset:64
	v_mov_b32_e32 v252, v12
	v_mov_b32_e32 v251, v11
	;; [unrolled: 1-line block ×4, first 2 shown]
	buffer_load_dword v12, off, s[44:47], 0 offset:92 ; 4-byte Folded Reload
	buffer_load_dword v13, off, s[44:47], 0 offset:96 ; 4-byte Folded Reload
	;; [unrolled: 1-line block ×4, first 2 shown]
	ds_write_b128 v0, v[241:244] offset:80
	ds_write_b128 v0, v[237:240] offset:96
	buffer_load_dword v237, off, s[44:47], 0 offset:40 ; 4-byte Folded Reload
	buffer_load_dword v238, off, s[44:47], 0 offset:44 ; 4-byte Folded Reload
	;; [unrolled: 1-line block ×4, first 2 shown]
	ds_write_b128 v0, v[245:248] offset:112
	v_mov_b32_e32 v248, v23
	v_mov_b32_e32 v247, v22
	;; [unrolled: 1-line block ×4, first 2 shown]
	buffer_load_dword v23, off, s[44:47], 0 offset:56 ; 4-byte Folded Reload
	v_add_f64 v[130:131], v[138:139], v[140:141]
	v_mov_b32_e32 v244, v19
	v_mov_b32_e32 v243, v18
	;; [unrolled: 1-line block ×4, first 2 shown]
	ds_write_b128 v0, v[228:231] offset:128
	ds_write_b128 v0, v[130:133] offset:144
	;; [unrolled: 1-line block ×3, first 2 shown]
.LBB0_17:
	s_or_b64 exec, exec, s[10:11]
	s_waitcnt vmcnt(0) lgkmcnt(0)
	s_barrier
	ds_read_b128 v[116:119], v227 offset:12320
	ds_read_b128 v[120:123], v227
	ds_read_b128 v[124:127], v227 offset:2464
	ds_read_b128 v[128:131], v227 offset:14784
	;; [unrolled: 1-line block ×4, first 2 shown]
	s_waitcnt lgkmcnt(5)
	v_mul_f64 v[0:1], v[38:39], v[118:119]
	v_mul_f64 v[2:3], v[38:39], v[116:117]
	s_waitcnt lgkmcnt(2)
	v_mul_f64 v[4:5], v[42:43], v[130:131]
	v_mul_f64 v[6:7], v[42:43], v[128:129]
	ds_read_b128 v[140:143], v227 offset:4928
	ds_read_b128 v[144:147], v227 offset:7392
	;; [unrolled: 1-line block ×4, first 2 shown]
	s_waitcnt lgkmcnt(0)
	s_barrier
	v_fma_f64 v[0:1], v[36:37], v[116:117], v[0:1]
	v_fma_f64 v[2:3], v[36:37], v[118:119], -v[2:3]
	v_fma_f64 v[4:5], v[40:41], v[128:129], v[4:5]
	v_fma_f64 v[6:7], v[40:41], v[130:131], -v[6:7]
	v_mul_f64 v[40:41], v[30:31], v[134:135]
	v_mul_f64 v[30:31], v[30:31], v[132:133]
	;; [unrolled: 1-line block ×6, first 2 shown]
	v_add_f64 v[36:37], v[120:121], -v[0:1]
	v_add_f64 v[38:39], v[122:123], -v[2:3]
	v_fma_f64 v[0:1], v[28:29], v[132:133], v[40:41]
	v_fma_f64 v[2:3], v[28:29], v[134:135], -v[30:31]
	v_fma_f64 v[28:29], v[24:25], v[148:149], v[42:43]
	v_fma_f64 v[26:27], v[24:25], v[150:151], -v[26:27]
	;; [unrolled: 2-line block ×3, first 2 shown]
	v_add_f64 v[116:117], v[124:125], -v[4:5]
	v_add_f64 v[118:119], v[126:127], -v[6:7]
	v_fma_f64 v[40:41], v[120:121], 2.0, -v[36:37]
	v_fma_f64 v[42:43], v[122:123], 2.0, -v[38:39]
	v_add_f64 v[120:121], v[140:141], -v[0:1]
	v_add_f64 v[122:123], v[142:143], -v[2:3]
	;; [unrolled: 1-line block ×6, first 2 shown]
	v_fma_f64 v[124:125], v[124:125], 2.0, -v[116:117]
	v_fma_f64 v[126:127], v[126:127], 2.0, -v[118:119]
	;; [unrolled: 1-line block ×8, first 2 shown]
	ds_write_b128 v254, v[40:43]
	ds_write_b128 v254, v[36:39] offset:176
	ds_write_b128 v234, v[124:127]
	ds_write_b128 v234, v[116:119] offset:176
	;; [unrolled: 2-line block ×5, first 2 shown]
	s_waitcnt lgkmcnt(0)
	s_barrier
	ds_read_b128 v[36:39], v227
	ds_read_b128 v[132:135], v227 offset:3520
	ds_read_b128 v[128:131], v227 offset:7040
	;; [unrolled: 1-line block ×6, first 2 shown]
	s_and_saveexec_b64 s[8:9], s[2:3]
	s_cbranch_execz .LBB0_19
; %bb.18:
	ds_read_b128 v[24:27], v227 offset:2464
	ds_read_b128 v[28:31], v227 offset:5984
	;; [unrolled: 1-line block ×7, first 2 shown]
.LBB0_19:
	s_or_b64 exec, exec, s[8:9]
	s_waitcnt lgkmcnt(5)
	v_mul_f64 v[0:1], v[82:83], v[134:135]
	v_mul_f64 v[2:3], v[82:83], v[132:133]
	s_waitcnt lgkmcnt(4)
	v_mul_f64 v[4:5], v[78:79], v[130:131]
	v_mul_f64 v[6:7], v[78:79], v[128:129]
	;; [unrolled: 3-line block ×3, first 2 shown]
	v_mul_f64 v[82:83], v[62:63], v[42:43]
	v_mul_f64 v[62:63], v[62:63], v[40:41]
	v_fma_f64 v[0:1], v[80:81], v[132:133], v[0:1]
	v_fma_f64 v[2:3], v[80:81], v[134:135], -v[2:3]
	v_fma_f64 v[4:5], v[76:77], v[128:129], v[4:5]
	v_fma_f64 v[6:7], v[76:77], v[130:131], -v[6:7]
	v_mul_f64 v[76:77], v[66:67], v[118:119]
	v_mul_f64 v[66:67], v[66:67], v[116:117]
	;; [unrolled: 1-line block ×4, first 2 shown]
	v_fma_f64 v[78:79], v[72:73], v[124:125], v[78:79]
	v_fma_f64 v[72:73], v[72:73], v[126:127], -v[74:75]
	v_fma_f64 v[40:41], v[60:61], v[40:41], v[82:83]
	v_fma_f64 v[42:43], v[60:61], v[42:43], -v[62:63]
	;; [unrolled: 2-line block ×4, first 2 shown]
	v_add_f64 v[60:61], v[0:1], v[78:79]
	v_add_f64 v[62:63], v[2:3], v[72:73]
	v_add_f64 v[2:3], v[2:3], -v[72:73]
	v_add_f64 v[0:1], v[0:1], -v[78:79]
	s_mov_b32 s20, 0x37e14327
	s_mov_b32 s10, 0x36b3c0b5
	v_add_f64 v[70:71], v[4:5], v[66:67]
	v_add_f64 v[72:73], v[6:7], v[68:69]
	v_add_f64 v[4:5], v[4:5], -v[66:67]
	v_add_f64 v[6:7], v[6:7], -v[68:69]
	v_add_f64 v[66:67], v[74:75], v[40:41]
	v_add_f64 v[68:69], v[64:65], v[42:43]
	v_add_f64 v[40:41], v[40:41], -v[74:75]
	v_add_f64 v[42:43], v[42:43], -v[64:65]
	v_add_f64 v[64:65], v[70:71], v[60:61]
	v_add_f64 v[74:75], v[72:73], v[62:63]
	v_add_f64 v[76:77], v[70:71], -v[60:61]
	v_add_f64 v[78:79], v[72:73], -v[62:63]
	v_add_f64 v[60:61], v[60:61], -v[66:67]
	v_add_f64 v[62:63], v[62:63], -v[68:69]
	;; [unrolled: 1-line block ×4, first 2 shown]
	v_add_f64 v[80:81], v[40:41], v[4:5]
	v_add_f64 v[82:83], v[42:43], v[6:7]
	v_add_f64 v[104:105], v[40:41], -v[4:5]
	v_add_f64 v[106:107], v[42:43], -v[6:7]
	v_add_f64 v[64:65], v[66:67], v[64:65]
	v_add_f64 v[66:67], v[68:69], v[74:75]
	v_add_f64 v[4:5], v[4:5], -v[0:1]
	v_add_f64 v[6:7], v[6:7], -v[2:3]
	s_mov_b32 s18, 0xe976ee23
	s_mov_b32 s21, 0x3fe948f6
	;; [unrolled: 1-line block ×5, first 2 shown]
	v_add_f64 v[40:41], v[0:1], -v[40:41]
	v_add_f64 v[42:43], v[2:3], -v[42:43]
	v_add_f64 v[0:1], v[80:81], v[0:1]
	v_add_f64 v[2:3], v[82:83], v[2:3]
	;; [unrolled: 1-line block ×4, first 2 shown]
	v_mul_f64 v[60:61], v[60:61], s[20:21]
	v_mul_f64 v[62:63], v[62:63], s[20:21]
	;; [unrolled: 1-line block ×6, first 2 shown]
	s_mov_b32 s9, 0xbfebfeb5
	v_mul_f64 v[104:105], v[4:5], s[8:9]
	v_mul_f64 v[106:107], v[6:7], s[8:9]
	s_mov_b32 s22, 0xaaaaaaaa
	s_mov_b32 s16, 0x5476071b
	;; [unrolled: 1-line block ×8, first 2 shown]
	v_fma_f64 v[64:65], v[64:65], s[22:23], v[36:37]
	v_fma_f64 v[66:67], v[66:67], s[22:23], v[38:39]
	;; [unrolled: 1-line block ×4, first 2 shown]
	v_fma_f64 v[68:69], v[76:77], s[16:17], -v[68:69]
	v_fma_f64 v[74:75], v[78:79], s[16:17], -v[74:75]
	;; [unrolled: 1-line block ×4, first 2 shown]
	v_fma_f64 v[76:77], v[40:41], s[28:29], v[80:81]
	v_fma_f64 v[78:79], v[42:43], s[28:29], v[82:83]
	s_mov_b32 s31, 0x3fd5d0dc
	s_mov_b32 s30, s28
	v_fma_f64 v[40:41], v[40:41], s[30:31], -v[104:105]
	v_fma_f64 v[42:43], v[42:43], s[30:31], -v[106:107]
	;; [unrolled: 1-line block ×4, first 2 shown]
	s_mov_b32 s24, 0x37c3f68c
	s_mov_b32 s25, 0xbfdc38aa
	v_add_f64 v[80:81], v[70:71], v[64:65]
	v_add_f64 v[82:83], v[72:73], v[66:67]
	v_fma_f64 v[78:79], v[2:3], s[24:25], v[78:79]
	v_fma_f64 v[104:105], v[0:1], s[24:25], v[76:77]
	v_add_f64 v[70:71], v[74:75], v[66:67]
	v_add_f64 v[72:73], v[60:61], v[64:65]
	;; [unrolled: 1-line block ×3, first 2 shown]
	v_fma_f64 v[76:77], v[2:3], s[24:25], v[42:43]
	v_fma_f64 v[106:107], v[0:1], s[24:25], v[40:41]
	v_add_f64 v[68:69], v[68:69], v[64:65]
	v_fma_f64 v[2:3], v[2:3], s[24:25], v[6:7]
	v_fma_f64 v[0:1], v[0:1], s[24:25], v[4:5]
	v_add_f64 v[40:41], v[78:79], v[80:81]
	v_add_f64 v[42:43], v[82:83], -v[104:105]
	v_add_f64 v[60:61], v[76:77], v[72:73]
	v_add_f64 v[62:63], v[74:75], -v[106:107]
	v_add_f64 v[72:73], v[72:73], -v[76:77]
	;; [unrolled: 1-line block ×3, first 2 shown]
	v_add_f64 v[66:67], v[0:1], v[70:71]
	v_add_f64 v[68:69], v[2:3], v[68:69]
	v_add_f64 v[70:71], v[70:71], -v[0:1]
	v_add_f64 v[74:75], v[106:107], v[74:75]
	v_add_f64 v[76:77], v[80:81], -v[78:79]
	v_add_f64 v[78:79], v[104:105], v[82:83]
	s_barrier
	ds_write_b128 v236, v[36:39]
	ds_write_b128 v236, v[40:43] offset:352
	ds_write_b128 v236, v[60:63] offset:704
	;; [unrolled: 1-line block ×6, first 2 shown]
	s_and_saveexec_b64 s[34:35], s[2:3]
	s_cbranch_execz .LBB0_21
; %bb.20:
	buffer_load_dword v8, off, s[44:47], 0 offset:4 ; 4-byte Folded Reload
	buffer_load_dword v9, off, s[44:47], 0 offset:8 ; 4-byte Folded Reload
	;; [unrolled: 1-line block ×8, first 2 shown]
	v_mov_b32_e32 v43, v15
	v_mul_f64 v[0:1], v[247:248], v[30:31]
	v_mul_f64 v[4:5], v[239:240], v[110:111]
	;; [unrolled: 1-line block ×4, first 2 shown]
	v_mov_b32_e32 v42, v14
	v_mov_b32_e32 v41, v13
	;; [unrolled: 1-line block ×3, first 2 shown]
	s_movk_i32 s2, 0x9a
	v_fma_f64 v[0:1], v[245:246], v[28:29], v[0:1]
	v_fma_f64 v[4:5], v[237:238], v[108:109], v[4:5]
	;; [unrolled: 1-line block ×3, first 2 shown]
	s_waitcnt vmcnt(4)
	v_mul_f64 v[2:3], v[10:11], v[14:15]
	s_waitcnt vmcnt(0)
	v_mul_f64 v[38:39], v[22:23], v[114:115]
	v_mul_f64 v[18:19], v[10:11], v[12:13]
	;; [unrolled: 1-line block ×5, first 2 shown]
	v_fma_f64 v[32:33], v[249:250], v[32:33], v[36:37]
	v_fma_f64 v[2:3], v[8:9], v[40:41], v[2:3]
	;; [unrolled: 1-line block ×3, first 2 shown]
	v_fma_f64 v[18:19], v[8:9], v[42:43], -v[18:19]
	v_fma_f64 v[10:11], v[245:246], v[30:31], -v[10:11]
	;; [unrolled: 1-line block ×4, first 2 shown]
	v_mul_f64 v[14:15], v[243:244], v[160:161]
	v_mul_f64 v[22:23], v[239:240], v[108:109]
	v_add_f64 v[8:9], v[4:5], -v[6:7]
	v_add_f64 v[16:17], v[32:33], -v[36:37]
	v_add_f64 v[62:63], v[0:1], v[2:3]
	v_add_f64 v[28:29], v[10:11], v[18:19]
	;; [unrolled: 1-line block ×4, first 2 shown]
	v_fma_f64 v[14:15], v[241:242], v[162:163], -v[14:15]
	v_fma_f64 v[22:23], v[237:238], v[110:111], -v[22:23]
	v_add_f64 v[34:35], v[0:1], -v[2:3]
	v_add_f64 v[0:1], v[8:9], v[16:17]
	v_add_f64 v[4:5], v[6:7], v[4:5]
	v_add_f64 v[38:39], v[8:9], -v[16:17]
	v_add_f64 v[6:7], v[32:33], v[62:63]
	v_add_f64 v[40:41], v[30:31], v[28:29]
	v_add_f64 v[12:13], v[12:13], -v[20:21]
	v_add_f64 v[42:43], v[14:15], v[22:23]
	v_add_f64 v[60:61], v[34:35], -v[8:9]
	v_add_f64 v[14:15], v[22:23], -v[14:15]
	;; [unrolled: 1-line block ×4, first 2 shown]
	v_add_f64 v[6:7], v[4:5], v[6:7]
	v_add_f64 v[16:17], v[16:17], -v[34:35]
	v_add_f64 v[4:5], v[4:5], -v[32:33]
	v_add_f64 v[8:9], v[42:43], v[40:41]
	v_add_f64 v[40:41], v[0:1], v[34:35]
	v_add_f64 v[0:1], v[28:29], -v[42:43]
	v_mul_f64 v[20:21], v[20:21], s[20:21]
	v_add_f64 v[34:35], v[12:13], -v[10:11]
	v_add_f64 v[28:29], v[30:31], -v[28:29]
	v_mul_f64 v[64:65], v[16:17], s[8:9]
	v_mul_f64 v[36:37], v[38:39], s[18:19]
	v_add_f64 v[2:3], v[26:27], v[8:9]
	v_add_f64 v[26:27], v[42:43], -v[30:31]
	v_mul_f64 v[22:23], v[0:1], s[20:21]
	v_add_f64 v[42:43], v[14:15], -v[12:13]
	v_add_f64 v[0:1], v[24:25], v[6:7]
	v_add_f64 v[12:13], v[14:15], v[12:13]
	v_add_f64 v[30:31], v[32:33], -v[62:63]
	v_mul_f64 v[32:33], v[34:35], s[8:9]
	v_fma_f64 v[8:9], v[8:9], s[22:23], v[2:3]
	v_mul_f64 v[18:19], v[26:27], s[10:11]
	v_fma_f64 v[24:25], v[26:27], s[10:11], v[22:23]
	v_add_f64 v[26:27], v[10:11], -v[14:15]
	v_mul_f64 v[42:43], v[42:43], s[18:19]
	v_fma_f64 v[14:15], v[6:7], s[22:23], v[0:1]
	v_fma_f64 v[6:7], v[4:5], s[10:11], v[20:21]
	v_add_f64 v[12:13], v[12:13], v[10:11]
	v_fma_f64 v[10:11], v[60:61], s[30:31], -v[64:65]
	v_fma_f64 v[22:23], v[28:29], s[26:27], -v[22:23]
	v_mul_f64 v[4:5], v[4:5], s[10:11]
	v_fma_f64 v[38:39], v[60:61], s[28:29], v[36:37]
	v_fma_f64 v[62:63], v[26:27], s[28:29], v[42:43]
	v_fma_f64 v[26:27], v[26:27], s[30:31], -v[32:33]
	v_add_f64 v[32:33], v[6:7], v[14:15]
	v_fma_f64 v[6:7], v[28:29], s[16:17], -v[18:19]
	v_fma_f64 v[28:29], v[40:41], s[24:25], v[10:11]
	v_add_f64 v[22:23], v[22:23], v[8:9]
	v_fma_f64 v[20:21], v[30:31], s[26:27], -v[20:21]
	v_fma_f64 v[16:17], v[16:17], s[8:9], -v[36:37]
	;; [unrolled: 1-line block ×3, first 2 shown]
	v_fma_f64 v[36:37], v[12:13], s[24:25], v[26:27]
	v_fma_f64 v[26:27], v[34:35], s[8:9], -v[42:43]
	v_fma_f64 v[38:39], v[40:41], s[24:25], v[38:39]
	v_add_f64 v[24:25], v[24:25], v[8:9]
	v_add_f64 v[10:11], v[28:29], v[22:23]
	v_add_f64 v[22:23], v[22:23], -v[28:29]
	buffer_load_dword v28, off, s[44:47], 0 offset:36 ; 4-byte Folded Reload
	buffer_load_dword v29, off, s[44:47], 0 ; 4-byte Folded Reload
	v_fma_f64 v[60:61], v[12:13], s[24:25], v[62:63]
	v_add_f64 v[20:21], v[20:21], v[14:15]
	v_add_f64 v[30:31], v[6:7], v[8:9]
	v_fma_f64 v[16:17], v[40:41], s[24:25], v[16:17]
	v_add_f64 v[34:35], v[18:19], v[14:15]
	v_fma_f64 v[12:13], v[12:13], s[24:25], v[26:27]
	v_add_f64 v[6:7], v[38:39], v[24:25]
	v_add_f64 v[26:27], v[24:25], -v[38:39]
	v_add_f64 v[24:25], v[60:61], v[32:33]
	v_add_f64 v[8:9], v[20:21], -v[36:37]
	;; [unrolled: 2-line block ×5, first 2 shown]
	s_waitcnt vmcnt(0)
	v_mad_legacy_u16 v28, v28, s2, v29
	v_lshlrev_b32_e32 v28, 4, v28
	ds_write_b128 v28, v[0:3]
	ds_write_b128 v28, v[24:27] offset:352
	ds_write_b128 v28, v[20:23] offset:704
	;; [unrolled: 1-line block ×6, first 2 shown]
.LBB0_21:
	s_or_b64 exec, exec, s[34:35]
	s_waitcnt lgkmcnt(0)
	s_barrier
	ds_read_b128 v[0:3], v227
	ds_read_b128 v[4:7], v227 offset:2464
	ds_read_b128 v[8:11], v227 offset:4928
	;; [unrolled: 1-line block ×7, first 2 shown]
	s_waitcnt lgkmcnt(5)
	v_mul_f64 v[40:41], v[58:59], v[10:11]
	v_mul_f64 v[42:43], v[58:59], v[8:9]
	s_waitcnt lgkmcnt(3)
	v_mul_f64 v[60:61], v[54:55], v[18:19]
	s_waitcnt lgkmcnt(1)
	v_mul_f64 v[64:65], v[50:51], v[26:27]
	v_mul_f64 v[66:67], v[50:51], v[24:25]
	ds_read_b128 v[32:35], v227 offset:19712
	ds_read_b128 v[36:39], v227 offset:22176
	v_mul_f64 v[62:63], v[54:55], v[16:17]
	s_mov_b32 s2, 0x134454ff
	v_fma_f64 v[40:41], v[56:57], v[8:9], v[40:41]
	s_waitcnt lgkmcnt(1)
	v_mul_f64 v[8:9], v[46:47], v[34:35]
	v_mul_f64 v[68:69], v[46:47], v[32:33]
	v_fma_f64 v[42:43], v[56:57], v[10:11], -v[42:43]
	v_fma_f64 v[10:11], v[52:53], v[16:17], v[60:61]
	v_fma_f64 v[16:17], v[48:49], v[24:25], v[64:65]
	v_fma_f64 v[24:25], v[48:49], v[26:27], -v[66:67]
	v_mul_f64 v[26:27], v[58:59], v[14:15]
	v_add_f64 v[60:61], v[0:1], v[40:41]
	v_fma_f64 v[32:33], v[44:45], v[32:33], v[8:9]
	v_mul_f64 v[8:9], v[58:59], v[12:13]
	v_fma_f64 v[18:19], v[52:53], v[18:19], -v[62:63]
	v_fma_f64 v[34:35], v[44:45], v[34:35], -v[68:69]
	v_mul_f64 v[58:59], v[54:55], v[22:23]
	v_mul_f64 v[54:55], v[54:55], v[20:21]
	v_add_f64 v[62:63], v[10:11], v[16:17]
	v_fma_f64 v[26:27], v[56:57], v[12:13], v[26:27]
	v_mul_f64 v[12:13], v[50:51], v[30:31]
	v_mul_f64 v[50:51], v[50:51], v[28:29]
	v_fma_f64 v[56:57], v[56:57], v[14:15], -v[8:9]
	v_add_f64 v[8:9], v[60:61], v[10:11]
	v_add_f64 v[60:61], v[40:41], v[32:33]
	v_fma_f64 v[58:59], v[52:53], v[20:21], v[58:59]
	v_fma_f64 v[52:53], v[52:53], v[22:23], -v[54:55]
	v_fma_f64 v[14:15], v[62:63], -0.5, v[0:1]
	v_add_f64 v[20:21], v[42:43], -v[34:35]
	v_fma_f64 v[28:29], v[48:49], v[28:29], v[12:13]
	s_waitcnt lgkmcnt(0)
	v_mul_f64 v[12:13], v[46:47], v[38:39]
	v_mul_f64 v[22:23], v[46:47], v[36:37]
	v_fma_f64 v[30:31], v[48:49], v[30:31], -v[50:51]
	s_mov_b32 s3, 0xbfee6f0e
	v_add_f64 v[48:49], v[18:19], -v[24:25]
	v_add_f64 v[50:51], v[40:41], -v[10:11]
	;; [unrolled: 1-line block ×3, first 2 shown]
	v_fma_f64 v[0:1], v[60:61], -0.5, v[0:1]
	s_mov_b32 s19, 0x3fee6f0e
	s_mov_b32 s18, s2
	v_fma_f64 v[46:47], v[20:21], s[2:3], v[14:15]
	v_fma_f64 v[36:37], v[44:45], v[36:37], v[12:13]
	v_fma_f64 v[38:39], v[44:45], v[38:39], -v[22:23]
	v_fma_f64 v[14:15], v[20:21], s[18:19], v[14:15]
	v_add_f64 v[44:45], v[2:3], v[42:43]
	s_mov_b32 s10, 0x4755a5e
	v_add_f64 v[8:9], v[8:9], v[16:17]
	s_mov_b32 s11, 0xbfe2cf23
	;; [unrolled: 2-line block ×3, first 2 shown]
	v_fma_f64 v[50:51], v[48:49], s[18:19], v[0:1]
	v_add_f64 v[54:55], v[10:11], -v[40:41]
	v_add_f64 v[60:61], v[16:17], -v[32:33]
	s_mov_b32 s16, s10
	v_fma_f64 v[12:13], v[48:49], s[10:11], v[46:47]
	v_fma_f64 v[14:15], v[48:49], s[16:17], v[14:15]
	v_add_f64 v[44:45], v[44:45], v[18:19]
	s_mov_b32 s8, 0x372fe950
	v_add_f64 v[8:9], v[8:9], v[32:33]
	s_mov_b32 s9, 0x3fd3c6ef
	v_add_f64 v[46:47], v[18:19], v[24:25]
	v_add_f64 v[32:33], v[40:41], -v[32:33]
	v_fma_f64 v[40:41], v[20:21], s[10:11], v[50:51]
	v_add_f64 v[50:51], v[54:55], v[60:61]
	v_fma_f64 v[48:49], v[48:49], s[2:3], v[0:1]
	v_fma_f64 v[0:1], v[22:23], s[8:9], v[12:13]
	;; [unrolled: 1-line block ×3, first 2 shown]
	v_add_f64 v[22:23], v[44:45], v[24:25]
	v_add_f64 v[44:45], v[42:43], v[34:35]
	v_fma_f64 v[46:47], v[46:47], -0.5, v[2:3]
	v_add_f64 v[54:55], v[10:11], -v[16:17]
	v_fma_f64 v[16:17], v[50:51], s[8:9], v[40:41]
	v_add_f64 v[40:41], v[58:59], v[28:29]
	v_fma_f64 v[14:15], v[20:21], s[16:17], v[48:49]
	v_add_f64 v[60:61], v[42:43], -v[18:19]
	v_add_f64 v[62:63], v[34:35], -v[24:25]
	v_fma_f64 v[2:3], v[44:45], -0.5, v[2:3]
	v_fma_f64 v[48:49], v[32:33], s[18:19], v[46:47]
	v_add_f64 v[44:45], v[56:57], -v[38:39]
	v_fma_f64 v[46:47], v[32:33], s[2:3], v[46:47]
	v_fma_f64 v[40:41], v[40:41], -0.5, v[4:5]
	v_fma_f64 v[20:21], v[50:51], s[8:9], v[14:15]
	v_add_f64 v[10:11], v[22:23], v[34:35]
	v_add_f64 v[22:23], v[4:5], v[26:27]
	v_fma_f64 v[50:51], v[54:55], s[2:3], v[2:3]
	v_add_f64 v[18:19], v[18:19], -v[42:43]
	v_add_f64 v[24:25], v[24:25], -v[34:35]
	v_fma_f64 v[2:3], v[54:55], s[18:19], v[2:3]
	v_fma_f64 v[14:15], v[54:55], s[16:17], v[48:49]
	v_add_f64 v[48:49], v[60:61], v[62:63]
	v_fma_f64 v[34:35], v[44:45], s[2:3], v[40:41]
	v_add_f64 v[42:43], v[52:53], -v[30:31]
	v_add_f64 v[60:61], v[26:27], -v[58:59]
	;; [unrolled: 1-line block ×3, first 2 shown]
	v_fma_f64 v[46:47], v[54:55], s[10:11], v[46:47]
	v_add_f64 v[54:55], v[26:27], v[36:37]
	v_add_f64 v[22:23], v[22:23], v[58:59]
	v_fma_f64 v[50:51], v[32:33], s[16:17], v[50:51]
	v_add_f64 v[24:25], v[18:19], v[24:25]
	v_fma_f64 v[32:33], v[32:33], s[10:11], v[2:3]
	v_fma_f64 v[34:35], v[42:43], s[10:11], v[34:35]
	v_add_f64 v[60:61], v[60:61], v[62:63]
	v_fma_f64 v[2:3], v[48:49], s[8:9], v[14:15]
	v_fma_f64 v[54:55], v[54:55], -0.5, v[4:5]
	v_add_f64 v[64:65], v[22:23], v[28:29]
	v_fma_f64 v[14:15], v[48:49], s[8:9], v[46:47]
	v_add_f64 v[48:49], v[56:57], v[38:39]
	v_fma_f64 v[22:23], v[24:25], s[8:9], v[32:33]
	;; [unrolled: 2-line block ×3, first 2 shown]
	v_fma_f64 v[24:25], v[60:61], s[8:9], v[34:35]
	v_fma_f64 v[34:35], v[44:45], s[18:19], v[40:41]
	;; [unrolled: 1-line block ×3, first 2 shown]
	v_add_f64 v[46:47], v[58:59], -v[26:27]
	v_add_f64 v[50:51], v[28:29], -v[36:37]
	v_add_f64 v[62:63], v[6:7], v[56:57]
	v_fma_f64 v[32:33], v[32:33], -0.5, v[6:7]
	v_add_f64 v[26:27], v[26:27], -v[36:37]
	v_add_f64 v[28:29], v[58:59], -v[28:29]
	v_fma_f64 v[6:7], v[48:49], -0.5, v[6:7]
	v_add_f64 v[4:5], v[64:65], v[36:37]
	v_fma_f64 v[36:37], v[44:45], s[10:11], v[40:41]
	v_add_f64 v[40:41], v[46:47], v[50:51]
	v_add_f64 v[46:47], v[62:63], v[52:53]
	v_fma_f64 v[34:35], v[42:43], s[16:17], v[34:35]
	v_fma_f64 v[42:43], v[42:43], s[2:3], v[54:55]
	v_fma_f64 v[48:49], v[26:27], s[18:19], v[32:33]
	v_add_f64 v[50:51], v[56:57], -v[52:53]
	v_add_f64 v[54:55], v[38:39], -v[30:31]
	v_fma_f64 v[58:59], v[28:29], s[2:3], v[6:7]
	v_add_f64 v[52:53], v[52:53], -v[56:57]
	v_add_f64 v[56:57], v[30:31], -v[38:39]
	v_fma_f64 v[32:33], v[26:27], s[2:3], v[32:33]
	v_fma_f64 v[6:7], v[28:29], s[18:19], v[6:7]
	v_add_f64 v[30:31], v[46:47], v[30:31]
	v_fma_f64 v[42:43], v[44:45], s[16:17], v[42:43]
	v_fma_f64 v[44:45], v[28:29], s[16:17], v[48:49]
	v_add_f64 v[46:47], v[50:51], v[54:55]
	v_fma_f64 v[50:51], v[26:27], s[16:17], v[58:59]
	v_add_f64 v[52:53], v[52:53], v[56:57]
	v_fma_f64 v[48:49], v[28:29], s[10:11], v[32:33]
	v_fma_f64 v[54:55], v[26:27], s[10:11], v[6:7]
	v_add_f64 v[6:7], v[30:31], v[38:39]
	v_fma_f64 v[28:29], v[60:61], s[8:9], v[34:35]
	v_fma_f64 v[32:33], v[40:41], s[8:9], v[36:37]
	;; [unrolled: 1-line block ×7, first 2 shown]
	s_barrier
	ds_write_b128 v227, v[8:11]
	ds_write_b128 v227, v[0:3] offset:2464
	ds_write_b128 v227, v[16:19] offset:4928
	;; [unrolled: 1-line block ×9, first 2 shown]
	s_waitcnt lgkmcnt(0)
	s_barrier
	ds_read_b128 v[0:3], v227 offset:12320
	ds_read_b128 v[4:7], v227
	ds_read_b128 v[8:11], v227 offset:2464
	ds_read_b128 v[12:15], v227 offset:14784
	ds_read_b128 v[16:19], v227 offset:17248
	ds_read_b128 v[20:23], v227 offset:9856
	s_waitcnt lgkmcnt(5)
	v_mul_f64 v[40:41], v[86:87], v[2:3]
	v_mul_f64 v[42:43], v[86:87], v[0:1]
	s_waitcnt lgkmcnt(2)
	v_mul_f64 v[44:45], v[90:91], v[14:15]
	v_mul_f64 v[46:47], v[90:91], v[12:13]
	ds_read_b128 v[24:27], v227 offset:4928
	ds_read_b128 v[28:31], v227 offset:7392
	;; [unrolled: 1-line block ×4, first 2 shown]
	v_fma_f64 v[0:1], v[84:85], v[0:1], v[40:41]
	v_fma_f64 v[2:3], v[84:85], v[2:3], -v[42:43]
	s_waitcnt lgkmcnt(5)
	v_mul_f64 v[40:41], v[94:95], v[18:19]
	v_mul_f64 v[42:43], v[94:95], v[16:17]
	v_fma_f64 v[12:13], v[88:89], v[12:13], v[44:45]
	v_fma_f64 v[14:15], v[88:89], v[14:15], -v[46:47]
	s_waitcnt lgkmcnt(1)
	v_mul_f64 v[44:45], v[98:99], v[34:35]
	v_mul_f64 v[46:47], v[98:99], v[32:33]
	s_waitcnt lgkmcnt(0)
	v_mul_f64 v[48:49], v[102:103], v[38:39]
	v_mul_f64 v[50:51], v[102:103], v[36:37]
	v_fma_f64 v[16:17], v[92:93], v[16:17], v[40:41]
	v_fma_f64 v[18:19], v[92:93], v[18:19], -v[42:43]
	v_add_f64 v[0:1], v[4:5], -v[0:1]
	v_add_f64 v[2:3], v[6:7], -v[2:3]
	v_fma_f64 v[32:33], v[96:97], v[32:33], v[44:45]
	v_fma_f64 v[34:35], v[96:97], v[34:35], -v[46:47]
	v_fma_f64 v[36:37], v[100:101], v[36:37], v[48:49]
	v_fma_f64 v[38:39], v[100:101], v[38:39], -v[50:51]
	v_add_f64 v[12:13], v[8:9], -v[12:13]
	v_add_f64 v[14:15], v[10:11], -v[14:15]
	;; [unrolled: 1-line block ×6, first 2 shown]
	v_fma_f64 v[4:5], v[4:5], 2.0, -v[0:1]
	v_fma_f64 v[6:7], v[6:7], 2.0, -v[2:3]
	v_add_f64 v[36:37], v[20:21], -v[36:37]
	v_add_f64 v[38:39], v[22:23], -v[38:39]
	v_fma_f64 v[8:9], v[8:9], 2.0, -v[12:13]
	v_fma_f64 v[10:11], v[10:11], 2.0, -v[14:15]
	;; [unrolled: 1-line block ×8, first 2 shown]
	ds_write_b128 v227, v[4:7]
	ds_write_b128 v227, v[0:3] offset:12320
	ds_write_b128 v227, v[8:11] offset:2464
	;; [unrolled: 1-line block ×9, first 2 shown]
	s_waitcnt lgkmcnt(0)
	s_barrier
	s_and_b64 exec, exec, s[0:1]
	s_cbranch_execz .LBB0_23
; %bb.22:
	v_mov_b32_e32 v4, s15
	global_load_dwordx4 v[0:3], v225, s[14:15]
	v_add_co_u32_e32 v50, vcc, s14, v225
	v_addc_co_u32_e32 v51, vcc, 0, v4, vcc
	global_load_dwordx4 v[4:7], v225, s[14:15] offset:2240
	s_movk_i32 s0, 0x1000
	v_add_co_u32_e32 v16, vcc, s0, v50
	v_addc_co_u32_e32 v17, vcc, 0, v51, vcc
	global_load_dwordx4 v[8:11], v[16:17], off offset:384
	global_load_dwordx4 v[12:15], v[16:17], off offset:2624
	s_movk_i32 s2, 0x2000
	v_add_co_u32_e32 v40, vcc, s2, v50
	v_addc_co_u32_e32 v41, vcc, 0, v51, vcc
	global_load_dwordx4 v[20:23], v[40:41], off offset:768
	ds_read_b128 v[16:19], v227
	ds_read_b128 v[24:27], v225 offset:2240
	ds_read_b128 v[28:31], v225 offset:4480
	;; [unrolled: 1-line block ×4, first 2 shown]
	global_load_dwordx4 v[40:43], v[40:41], off offset:3008
	v_mad_u64_u32 v[66:67], s[2:3], s4, v226, 0
	v_mad_u64_u32 v[64:65], s[0:1], s6, v232, 0
	s_mul_hi_u32 s6, s4, 0x8c0
	s_mul_i32 s2, s4, 0x8c0
	s_movk_i32 s4, 0x3000
	v_add_co_u32_e32 v48, vcc, s4, v50
	v_addc_co_u32_e32 v49, vcc, 0, v51, vcc
	global_load_dwordx4 v[44:47], v[48:49], off offset:1152
	s_movk_i32 s8, 0x4000
	v_add_co_u32_e32 v68, vcc, s8, v50
	s_movk_i32 s9, 0x5000
	v_addc_co_u32_e32 v69, vcc, 0, v51, vcc
	v_add_co_u32_e32 v70, vcc, s9, v50
	v_addc_co_u32_e32 v71, vcc, 0, v51, vcc
	global_load_dwordx4 v[48:51], v[48:49], off offset:3392
	s_mul_i32 s3, s5, 0x8c0
	v_mov_b32_e32 v52, v65
	v_mov_b32_e32 v53, v67
	s_add_i32 s3, s6, s3
	v_mad_u64_u32 v[72:73], s[6:7], s7, v232, v[52:53]
	v_mad_u64_u32 v[73:74], s[4:5], s5, v226, v[53:54]
	global_load_dwordx4 v[52:55], v[68:69], off offset:1536
	global_load_dwordx4 v[56:59], v[68:69], off offset:3776
	;; [unrolled: 1-line block ×3, first 2 shown]
	v_mov_b32_e32 v65, v72
	v_lshlrev_b64 v[64:65], 4, v[64:65]
	v_mov_b32_e32 v75, s13
	v_add_co_u32_e32 v70, vcc, s12, v64
	v_addc_co_u32_e32 v71, vcc, v75, v65, vcc
	v_mov_b32_e32 v67, v73
	v_lshlrev_b64 v[66:67], 4, v[66:67]
	s_mov_b32 s0, 0xe6bb82fe
	v_add_co_u32_e32 v66, vcc, v70, v66
	v_addc_co_u32_e32 v67, vcc, v71, v67, vcc
	s_mov_b32 s1, 0x3f454725
	v_mov_b32_e32 v76, s3
	v_mov_b32_e32 v77, s3
	s_waitcnt vmcnt(10) lgkmcnt(4)
	v_mul_f64 v[64:65], v[18:19], v[2:3]
	v_mul_f64 v[2:3], v[16:17], v[2:3]
	s_waitcnt vmcnt(9) lgkmcnt(3)
	v_mul_f64 v[68:69], v[26:27], v[6:7]
	v_mul_f64 v[6:7], v[24:25], v[6:7]
	v_fma_f64 v[16:17], v[16:17], v[0:1], v[64:65]
	v_fma_f64 v[2:3], v[0:1], v[18:19], -v[2:3]
	s_waitcnt vmcnt(8) lgkmcnt(2)
	v_mul_f64 v[70:71], v[30:31], v[10:11]
	v_mul_f64 v[10:11], v[28:29], v[10:11]
	v_fma_f64 v[18:19], v[24:25], v[4:5], v[68:69]
	v_fma_f64 v[6:7], v[4:5], v[26:27], -v[6:7]
	s_waitcnt vmcnt(7) lgkmcnt(1)
	v_mul_f64 v[24:25], v[34:35], v[14:15]
	v_mul_f64 v[14:15], v[32:33], v[14:15]
	;; [unrolled: 1-line block ×3, first 2 shown]
	v_fma_f64 v[26:27], v[28:29], v[8:9], v[70:71]
	v_fma_f64 v[10:11], v[8:9], v[30:31], -v[10:11]
	v_mul_f64 v[2:3], v[2:3], s[0:1]
	v_mul_f64 v[4:5], v[18:19], s[0:1]
	;; [unrolled: 1-line block ×3, first 2 shown]
	v_fma_f64 v[18:19], v[32:33], v[12:13], v[24:25]
	v_fma_f64 v[12:13], v[12:13], v[34:35], -v[14:15]
	s_waitcnt vmcnt(6) lgkmcnt(0)
	v_mul_f64 v[14:15], v[38:39], v[22:23]
	v_mul_f64 v[8:9], v[26:27], s[0:1]
	;; [unrolled: 1-line block ×4, first 2 shown]
	v_add_co_u32_e32 v16, vcc, s2, v66
	v_addc_co_u32_e32 v17, vcc, v67, v76, vcc
	global_store_dwordx4 v[66:67], v[0:3], off
	global_store_dwordx4 v[16:17], v[4:7], off
	ds_read_b128 v[4:7], v225 offset:11200
	v_add_co_u32_e32 v16, vcc, s2, v16
	v_addc_co_u32_e32 v17, vcc, v17, v77, vcc
	global_store_dwordx4 v[16:17], v[8:11], off
	ds_read_b128 v[8:11], v225 offset:13440
	v_mul_f64 v[0:1], v[18:19], s[0:1]
	v_mul_f64 v[2:3], v[12:13], s[0:1]
	v_fma_f64 v[12:13], v[36:37], v[20:21], v[14:15]
	v_fma_f64 v[14:15], v[20:21], v[38:39], -v[22:23]
	s_waitcnt vmcnt(8) lgkmcnt(1)
	v_mul_f64 v[18:19], v[6:7], v[42:43]
	v_mul_f64 v[20:21], v[4:5], v[42:43]
	v_mov_b32_e32 v24, s3
	v_add_co_u32_e32 v16, vcc, s2, v16
	v_addc_co_u32_e32 v17, vcc, v17, v24, vcc
	global_store_dwordx4 v[16:17], v[0:3], off
	v_fma_f64 v[4:5], v[4:5], v[40:41], v[18:19]
	v_mul_f64 v[0:1], v[12:13], s[0:1]
	v_mul_f64 v[2:3], v[14:15], s[0:1]
	v_fma_f64 v[6:7], v[40:41], v[6:7], -v[20:21]
	s_waitcnt vmcnt(8) lgkmcnt(0)
	v_mul_f64 v[12:13], v[10:11], v[46:47]
	v_mul_f64 v[14:15], v[8:9], v[46:47]
	v_mov_b32_e32 v22, s3
	v_add_co_u32_e32 v16, vcc, s2, v16
	v_addc_co_u32_e32 v17, vcc, v17, v22, vcc
	global_store_dwordx4 v[16:17], v[0:3], off
	v_fma_f64 v[12:13], v[8:9], v[44:45], v[12:13]
	v_mul_f64 v[0:1], v[4:5], s[0:1]
	v_mul_f64 v[2:3], v[6:7], s[0:1]
	ds_read_b128 v[4:7], v225 offset:15680
	v_fma_f64 v[14:15], v[44:45], v[10:11], -v[14:15]
	ds_read_b128 v[8:11], v225 offset:17920
	v_add_co_u32_e32 v16, vcc, s2, v16
	s_waitcnt vmcnt(8) lgkmcnt(1)
	v_mul_f64 v[18:19], v[6:7], v[50:51]
	v_mul_f64 v[20:21], v[4:5], v[50:51]
	v_addc_co_u32_e32 v17, vcc, v17, v22, vcc
	global_store_dwordx4 v[16:17], v[0:3], off
	v_add_co_u32_e32 v16, vcc, s2, v16
	v_mul_f64 v[0:1], v[12:13], s[0:1]
	v_mul_f64 v[2:3], v[14:15], s[0:1]
	v_fma_f64 v[4:5], v[4:5], v[48:49], v[18:19]
	v_fma_f64 v[6:7], v[48:49], v[6:7], -v[20:21]
	s_waitcnt vmcnt(8) lgkmcnt(0)
	v_mul_f64 v[12:13], v[10:11], v[54:55]
	v_mul_f64 v[14:15], v[8:9], v[54:55]
	v_addc_co_u32_e32 v17, vcc, v17, v22, vcc
	v_mov_b32_e32 v18, s3
	global_store_dwordx4 v[16:17], v[0:3], off
	v_add_co_u32_e32 v16, vcc, s2, v16
	v_mul_f64 v[0:1], v[4:5], s[0:1]
	v_mul_f64 v[2:3], v[6:7], s[0:1]
	v_fma_f64 v[12:13], v[8:9], v[52:53], v[12:13]
	v_fma_f64 v[14:15], v[52:53], v[10:11], -v[14:15]
	ds_read_b128 v[4:7], v225 offset:20160
	ds_read_b128 v[8:11], v225 offset:22400
	v_addc_co_u32_e32 v17, vcc, v17, v18, vcc
	s_waitcnt vmcnt(8) lgkmcnt(1)
	v_mul_f64 v[18:19], v[6:7], v[58:59]
	v_mul_f64 v[20:21], v[4:5], v[58:59]
	s_waitcnt vmcnt(7) lgkmcnt(0)
	v_mul_f64 v[22:23], v[10:11], v[62:63]
	v_mul_f64 v[24:25], v[8:9], v[62:63]
	global_store_dwordx4 v[16:17], v[0:3], off
	v_fma_f64 v[4:5], v[4:5], v[56:57], v[18:19]
	v_mul_f64 v[0:1], v[12:13], s[0:1]
	v_mul_f64 v[2:3], v[14:15], s[0:1]
	v_fma_f64 v[6:7], v[56:57], v[6:7], -v[20:21]
	v_fma_f64 v[8:9], v[8:9], v[60:61], v[22:23]
	v_fma_f64 v[10:11], v[60:61], v[10:11], -v[24:25]
	v_mov_b32_e32 v13, s3
	v_add_co_u32_e32 v12, vcc, s2, v16
	v_addc_co_u32_e32 v13, vcc, v17, v13, vcc
	global_store_dwordx4 v[12:13], v[0:3], off
	v_mov_b32_e32 v14, s3
	v_mul_f64 v[0:1], v[4:5], s[0:1]
	v_mul_f64 v[2:3], v[6:7], s[0:1]
	;; [unrolled: 1-line block ×4, first 2 shown]
	v_add_co_u32_e32 v8, vcc, s2, v12
	v_addc_co_u32_e32 v9, vcc, v13, v14, vcc
	global_store_dwordx4 v[8:9], v[0:3], off
	s_nop 0
	v_mov_b32_e32 v1, s3
	v_add_co_u32_e32 v0, vcc, s2, v8
	v_addc_co_u32_e32 v1, vcc, v9, v1, vcc
	global_store_dwordx4 v[0:1], v[4:7], off
.LBB0_23:
	s_endpgm
	.section	.rodata,"a",@progbits
	.p2align	6, 0x0
	.amdhsa_kernel bluestein_single_fwd_len1540_dim1_dp_op_CI_CI
		.amdhsa_group_segment_fixed_size 24640
		.amdhsa_private_segment_fixed_size 176
		.amdhsa_kernarg_size 104
		.amdhsa_user_sgpr_count 6
		.amdhsa_user_sgpr_private_segment_buffer 1
		.amdhsa_user_sgpr_dispatch_ptr 0
		.amdhsa_user_sgpr_queue_ptr 0
		.amdhsa_user_sgpr_kernarg_segment_ptr 1
		.amdhsa_user_sgpr_dispatch_id 0
		.amdhsa_user_sgpr_flat_scratch_init 0
		.amdhsa_user_sgpr_private_segment_size 0
		.amdhsa_uses_dynamic_stack 0
		.amdhsa_system_sgpr_private_segment_wavefront_offset 1
		.amdhsa_system_sgpr_workgroup_id_x 1
		.amdhsa_system_sgpr_workgroup_id_y 0
		.amdhsa_system_sgpr_workgroup_id_z 0
		.amdhsa_system_sgpr_workgroup_info 0
		.amdhsa_system_vgpr_workitem_id 0
		.amdhsa_next_free_vgpr 256
		.amdhsa_next_free_sgpr 48
		.amdhsa_reserve_vcc 1
		.amdhsa_reserve_flat_scratch 0
		.amdhsa_float_round_mode_32 0
		.amdhsa_float_round_mode_16_64 0
		.amdhsa_float_denorm_mode_32 3
		.amdhsa_float_denorm_mode_16_64 3
		.amdhsa_dx10_clamp 1
		.amdhsa_ieee_mode 1
		.amdhsa_fp16_overflow 0
		.amdhsa_exception_fp_ieee_invalid_op 0
		.amdhsa_exception_fp_denorm_src 0
		.amdhsa_exception_fp_ieee_div_zero 0
		.amdhsa_exception_fp_ieee_overflow 0
		.amdhsa_exception_fp_ieee_underflow 0
		.amdhsa_exception_fp_ieee_inexact 0
		.amdhsa_exception_int_div_zero 0
	.end_amdhsa_kernel
	.text
.Lfunc_end0:
	.size	bluestein_single_fwd_len1540_dim1_dp_op_CI_CI, .Lfunc_end0-bluestein_single_fwd_len1540_dim1_dp_op_CI_CI
                                        ; -- End function
	.section	.AMDGPU.csdata,"",@progbits
; Kernel info:
; codeLenInByte = 19484
; NumSgprs: 52
; NumVgprs: 256
; ScratchSize: 176
; MemoryBound: 0
; FloatMode: 240
; IeeeMode: 1
; LDSByteSize: 24640 bytes/workgroup (compile time only)
; SGPRBlocks: 6
; VGPRBlocks: 63
; NumSGPRsForWavesPerEU: 52
; NumVGPRsForWavesPerEU: 256
; Occupancy: 1
; WaveLimiterHint : 1
; COMPUTE_PGM_RSRC2:SCRATCH_EN: 1
; COMPUTE_PGM_RSRC2:USER_SGPR: 6
; COMPUTE_PGM_RSRC2:TRAP_HANDLER: 0
; COMPUTE_PGM_RSRC2:TGID_X_EN: 1
; COMPUTE_PGM_RSRC2:TGID_Y_EN: 0
; COMPUTE_PGM_RSRC2:TGID_Z_EN: 0
; COMPUTE_PGM_RSRC2:TIDIG_COMP_CNT: 0
	.type	__hip_cuid_68692d7f95f0e1cd,@object ; @__hip_cuid_68692d7f95f0e1cd
	.section	.bss,"aw",@nobits
	.globl	__hip_cuid_68692d7f95f0e1cd
__hip_cuid_68692d7f95f0e1cd:
	.byte	0                               ; 0x0
	.size	__hip_cuid_68692d7f95f0e1cd, 1

	.ident	"AMD clang version 19.0.0git (https://github.com/RadeonOpenCompute/llvm-project roc-6.4.0 25133 c7fe45cf4b819c5991fe208aaa96edf142730f1d)"
	.section	".note.GNU-stack","",@progbits
	.addrsig
	.addrsig_sym __hip_cuid_68692d7f95f0e1cd
	.amdgpu_metadata
---
amdhsa.kernels:
  - .args:
      - .actual_access:  read_only
        .address_space:  global
        .offset:         0
        .size:           8
        .value_kind:     global_buffer
      - .actual_access:  read_only
        .address_space:  global
        .offset:         8
        .size:           8
        .value_kind:     global_buffer
      - .actual_access:  read_only
        .address_space:  global
        .offset:         16
        .size:           8
        .value_kind:     global_buffer
      - .actual_access:  read_only
        .address_space:  global
        .offset:         24
        .size:           8
        .value_kind:     global_buffer
      - .actual_access:  read_only
        .address_space:  global
        .offset:         32
        .size:           8
        .value_kind:     global_buffer
      - .offset:         40
        .size:           8
        .value_kind:     by_value
      - .address_space:  global
        .offset:         48
        .size:           8
        .value_kind:     global_buffer
      - .address_space:  global
        .offset:         56
        .size:           8
        .value_kind:     global_buffer
      - .address_space:  global
        .offset:         64
        .size:           8
        .value_kind:     global_buffer
      - .address_space:  global
        .offset:         72
        .size:           8
        .value_kind:     global_buffer
      - .offset:         80
        .size:           4
        .value_kind:     by_value
      - .address_space:  global
        .offset:         88
        .size:           8
        .value_kind:     global_buffer
      - .address_space:  global
        .offset:         96
        .size:           8
        .value_kind:     global_buffer
    .group_segment_fixed_size: 24640
    .kernarg_segment_align: 8
    .kernarg_segment_size: 104
    .language:       OpenCL C
    .language_version:
      - 2
      - 0
    .max_flat_workgroup_size: 154
    .name:           bluestein_single_fwd_len1540_dim1_dp_op_CI_CI
    .private_segment_fixed_size: 176
    .sgpr_count:     52
    .sgpr_spill_count: 0
    .symbol:         bluestein_single_fwd_len1540_dim1_dp_op_CI_CI.kd
    .uniform_work_group_size: 1
    .uses_dynamic_stack: false
    .vgpr_count:     256
    .vgpr_spill_count: 43
    .wavefront_size: 64
amdhsa.target:   amdgcn-amd-amdhsa--gfx906
amdhsa.version:
  - 1
  - 2
...

	.end_amdgpu_metadata
